;; amdgpu-corpus repo=ROCm/rocFFT kind=compiled arch=gfx950 opt=O3
	.text
	.amdgcn_target "amdgcn-amd-amdhsa--gfx950"
	.amdhsa_code_object_version 6
	.protected	fft_rtc_back_len1360_factors_17_5_16_wgs_255_tpt_85_halfLds_dp_op_CI_CI_unitstride_sbrr_C2R_dirReg ; -- Begin function fft_rtc_back_len1360_factors_17_5_16_wgs_255_tpt_85_halfLds_dp_op_CI_CI_unitstride_sbrr_C2R_dirReg
	.globl	fft_rtc_back_len1360_factors_17_5_16_wgs_255_tpt_85_halfLds_dp_op_CI_CI_unitstride_sbrr_C2R_dirReg
	.p2align	8
	.type	fft_rtc_back_len1360_factors_17_5_16_wgs_255_tpt_85_halfLds_dp_op_CI_CI_unitstride_sbrr_C2R_dirReg,@function
fft_rtc_back_len1360_factors_17_5_16_wgs_255_tpt_85_halfLds_dp_op_CI_CI_unitstride_sbrr_C2R_dirReg: ; @fft_rtc_back_len1360_factors_17_5_16_wgs_255_tpt_85_halfLds_dp_op_CI_CI_unitstride_sbrr_C2R_dirReg
; %bb.0:
	s_load_dwordx4 s[4:7], s[0:1], 0x58
	s_load_dwordx4 s[8:11], s[0:1], 0x0
	;; [unrolled: 1-line block ×3, first 2 shown]
	v_mul_u32_u24_e32 v1, 0x304, v0
	v_lshrrev_b32_e32 v2, 16, v1
	v_mad_u64_u32 v[4:5], s[2:3], s2, 3, v[2:3]
	v_mov_b32_e32 v6, 0
	v_mov_b32_e32 v5, v6
	s_waitcnt lgkmcnt(0)
	v_cmp_lt_u64_e64 s[2:3], s[10:11], 2
	v_mov_b64_e32 v[2:3], 0
	s_and_b64 vcc, exec, s[2:3]
	v_mov_b64_e32 v[120:121], v[2:3]
	v_mov_b64_e32 v[122:123], v[4:5]
	s_cbranch_vccnz .LBB0_8
; %bb.1:
	s_load_dwordx2 s[2:3], s[0:1], 0x10
	s_add_u32 s16, s14, 8
	s_addc_u32 s17, s15, 0
	s_add_u32 s18, s12, 8
	s_addc_u32 s19, s13, 0
	s_waitcnt lgkmcnt(0)
	s_add_u32 s20, s2, 8
	v_mov_b64_e32 v[2:3], 0
	s_addc_u32 s21, s3, 0
	s_mov_b64 s[22:23], 1
	v_mov_b64_e32 v[120:121], v[2:3]
	v_mov_b64_e32 v[8:9], v[4:5]
.LBB0_2:                                ; =>This Inner Loop Header: Depth=1
	s_load_dwordx2 s[24:25], s[20:21], 0x0
                                        ; implicit-def: $vgpr122_vgpr123
	s_waitcnt lgkmcnt(0)
	v_or_b32_e32 v7, s25, v9
	v_cmp_ne_u64_e32 vcc, 0, v[6:7]
	s_and_saveexec_b64 s[2:3], vcc
	s_xor_b64 s[26:27], exec, s[2:3]
	s_cbranch_execz .LBB0_4
; %bb.3:                                ;   in Loop: Header=BB0_2 Depth=1
	v_cvt_f32_u32_e32 v1, s24
	v_cvt_f32_u32_e32 v5, s25
	s_sub_u32 s2, 0, s24
	s_subb_u32 s3, 0, s25
	v_fmac_f32_e32 v1, 0x4f800000, v5
	v_rcp_f32_e32 v1, v1
	s_nop 0
	v_mul_f32_e32 v1, 0x5f7ffffc, v1
	v_mul_f32_e32 v5, 0x2f800000, v1
	v_trunc_f32_e32 v5, v5
	v_fmac_f32_e32 v1, 0xcf800000, v5
	v_cvt_u32_f32_e32 v5, v5
	v_cvt_u32_f32_e32 v1, v1
	v_mul_lo_u32 v7, s2, v5
	v_mul_hi_u32 v10, s2, v1
	v_mul_lo_u32 v11, s3, v1
	v_add_u32_e32 v7, v10, v7
	v_mul_lo_u32 v14, s2, v1
	v_add_u32_e32 v7, v7, v11
	v_mul_hi_u32 v10, v1, v14
	v_mul_hi_u32 v13, v1, v7
	v_mul_lo_u32 v12, v1, v7
	v_mov_b32_e32 v11, v6
	v_lshl_add_u64 v[10:11], v[10:11], 0, v[12:13]
	v_mul_hi_u32 v13, v5, v14
	v_mul_lo_u32 v14, v5, v14
	v_add_co_u32_e32 v10, vcc, v10, v14
	v_mul_hi_u32 v12, v5, v7
	s_nop 0
	v_addc_co_u32_e32 v10, vcc, v11, v13, vcc
	v_mov_b32_e32 v11, v6
	s_nop 0
	v_addc_co_u32_e32 v13, vcc, 0, v12, vcc
	v_mul_lo_u32 v12, v5, v7
	v_lshl_add_u64 v[10:11], v[10:11], 0, v[12:13]
	v_add_co_u32_e32 v1, vcc, v1, v10
	v_mul_hi_u32 v10, s2, v1
	s_nop 0
	v_addc_co_u32_e32 v5, vcc, v5, v11, vcc
	v_mul_lo_u32 v7, s2, v5
	v_add_u32_e32 v7, v10, v7
	v_mul_lo_u32 v10, s3, v1
	v_add_u32_e32 v7, v7, v10
	v_mul_lo_u32 v12, s2, v1
	v_mul_hi_u32 v15, v5, v12
	v_mul_lo_u32 v16, v5, v12
	v_mul_hi_u32 v11, v1, v7
	;; [unrolled: 2-line block ×3, first 2 shown]
	v_mov_b32_e32 v13, v6
	v_lshl_add_u64 v[10:11], v[12:13], 0, v[10:11]
	v_add_co_u32_e32 v10, vcc, v10, v16
	v_mul_hi_u32 v14, v5, v7
	s_nop 0
	v_addc_co_u32_e32 v10, vcc, v11, v15, vcc
	v_mul_lo_u32 v12, v5, v7
	s_nop 0
	v_addc_co_u32_e32 v13, vcc, 0, v14, vcc
	v_mov_b32_e32 v11, v6
	v_lshl_add_u64 v[10:11], v[10:11], 0, v[12:13]
	v_add_co_u32_e32 v1, vcc, v1, v10
	v_mul_hi_u32 v12, v8, v1
	s_nop 0
	v_addc_co_u32_e32 v5, vcc, v5, v11, vcc
	v_mad_u64_u32 v[10:11], s[2:3], v8, v5, 0
	v_mov_b32_e32 v13, v6
	v_lshl_add_u64 v[10:11], v[12:13], 0, v[10:11]
	v_mad_u64_u32 v[14:15], s[2:3], v9, v1, 0
	v_add_co_u32_e32 v1, vcc, v10, v14
	v_mad_u64_u32 v[12:13], s[2:3], v9, v5, 0
	s_nop 0
	v_addc_co_u32_e32 v10, vcc, v11, v15, vcc
	v_mov_b32_e32 v11, v6
	s_nop 0
	v_addc_co_u32_e32 v13, vcc, 0, v13, vcc
	v_lshl_add_u64 v[10:11], v[10:11], 0, v[12:13]
	v_mul_lo_u32 v1, s25, v10
	v_mul_lo_u32 v5, s24, v11
	v_mad_u64_u32 v[12:13], s[2:3], s24, v10, 0
	v_add3_u32 v1, v13, v5, v1
	v_sub_u32_e32 v5, v9, v1
	v_mov_b32_e32 v7, s25
	v_sub_co_u32_e32 v16, vcc, v8, v12
	v_lshl_add_u64 v[14:15], v[10:11], 0, 1
	s_nop 0
	v_subb_co_u32_e64 v5, s[2:3], v5, v7, vcc
	v_subrev_co_u32_e64 v7, s[2:3], s24, v16
	v_subb_co_u32_e32 v1, vcc, v9, v1, vcc
	s_nop 0
	v_subbrev_co_u32_e64 v5, s[2:3], 0, v5, s[2:3]
	v_cmp_le_u32_e64 s[2:3], s25, v5
	v_cmp_le_u32_e32 vcc, s25, v1
	s_nop 0
	v_cndmask_b32_e64 v12, 0, -1, s[2:3]
	v_cmp_le_u32_e64 s[2:3], s24, v7
	s_nop 1
	v_cndmask_b32_e64 v7, 0, -1, s[2:3]
	v_cmp_eq_u32_e64 s[2:3], s25, v5
	s_nop 1
	v_cndmask_b32_e64 v5, v12, v7, s[2:3]
	v_lshl_add_u64 v[12:13], v[10:11], 0, 2
	v_cmp_ne_u32_e64 s[2:3], 0, v5
	v_cndmask_b32_e64 v7, 0, -1, vcc
	v_cmp_le_u32_e32 vcc, s24, v16
	v_cndmask_b32_e64 v5, v15, v13, s[2:3]
	s_nop 0
	v_cndmask_b32_e64 v13, 0, -1, vcc
	v_cmp_eq_u32_e32 vcc, s25, v1
	s_nop 1
	v_cndmask_b32_e32 v1, v7, v13, vcc
	v_cmp_ne_u32_e32 vcc, 0, v1
	v_cndmask_b32_e64 v1, v14, v12, s[2:3]
	s_nop 0
	v_cndmask_b32_e32 v123, v11, v5, vcc
	v_cndmask_b32_e32 v122, v10, v1, vcc
.LBB0_4:                                ;   in Loop: Header=BB0_2 Depth=1
	s_andn2_saveexec_b64 s[2:3], s[26:27]
	s_cbranch_execz .LBB0_6
; %bb.5:                                ;   in Loop: Header=BB0_2 Depth=1
	v_cvt_f32_u32_e32 v1, s24
	s_sub_i32 s26, 0, s24
	v_mov_b32_e32 v123, v6
	v_rcp_iflag_f32_e32 v1, v1
	s_nop 0
	v_mul_f32_e32 v1, 0x4f7ffffe, v1
	v_cvt_u32_f32_e32 v1, v1
	v_mul_lo_u32 v5, s26, v1
	v_mul_hi_u32 v5, v1, v5
	v_add_u32_e32 v1, v1, v5
	v_mul_hi_u32 v1, v8, v1
	v_mul_lo_u32 v5, v1, s24
	v_sub_u32_e32 v5, v8, v5
	v_add_u32_e32 v7, 1, v1
	v_subrev_u32_e32 v10, s24, v5
	v_cmp_le_u32_e32 vcc, s24, v5
	s_nop 1
	v_cndmask_b32_e32 v5, v5, v10, vcc
	v_cndmask_b32_e32 v1, v1, v7, vcc
	v_add_u32_e32 v7, 1, v1
	v_cmp_le_u32_e32 vcc, s24, v5
	s_nop 1
	v_cndmask_b32_e32 v122, v1, v7, vcc
.LBB0_6:                                ;   in Loop: Header=BB0_2 Depth=1
	s_or_b64 exec, exec, s[2:3]
	v_mad_u64_u32 v[10:11], s[2:3], v122, s24, 0
	s_load_dwordx2 s[2:3], s[18:19], 0x0
	s_add_u32 s22, s22, 1
	v_mul_lo_u32 v1, v123, s24
	v_mul_lo_u32 v5, v122, s25
	s_load_dwordx2 s[24:25], s[16:17], 0x0
	s_addc_u32 s23, s23, 0
	v_add3_u32 v1, v11, v5, v1
	v_sub_co_u32_e32 v5, vcc, v8, v10
	s_add_u32 s16, s16, 8
	s_nop 0
	v_subb_co_u32_e32 v1, vcc, v9, v1, vcc
	s_addc_u32 s17, s17, 0
	s_waitcnt lgkmcnt(0)
	v_mul_lo_u32 v7, s2, v1
	v_mul_lo_u32 v8, s3, v5
	v_mad_u64_u32 v[2:3], s[2:3], s2, v5, v[2:3]
	s_add_u32 s18, s18, 8
	v_add3_u32 v3, v8, v3, v7
	s_addc_u32 s19, s19, 0
	v_mov_b64_e32 v[8:9], s[10:11]
	v_mul_lo_u32 v1, s24, v1
	v_mul_lo_u32 v7, s25, v5
	v_mad_u64_u32 v[120:121], s[2:3], s24, v5, v[120:121]
	s_add_u32 s20, s20, 8
	v_cmp_ge_u64_e32 vcc, s[22:23], v[8:9]
	v_add3_u32 v121, v7, v121, v1
	s_addc_u32 s21, s21, 0
	s_cbranch_vccnz .LBB0_8
; %bb.7:                                ;   in Loop: Header=BB0_2 Depth=1
	v_mov_b64_e32 v[8:9], v[122:123]
	s_branch .LBB0_2
.LBB0_8:
	s_load_dwordx2 s[18:19], s[0:1], 0x28
	s_mov_b32 s0, 0xaaaaaaab
	v_mul_hi_u32 v1, v4, s0
	s_lshl_b64 s[16:17], s[10:11], 3
	v_lshrrev_b32_e32 v1, 1, v1
	s_add_u32 s2, s14, s16
	v_lshl_add_u32 v1, v1, 1, v1
	s_addc_u32 s3, s15, s17
	v_sub_u32_e32 v1, v4, v1
	s_waitcnt lgkmcnt(0)
	v_cmp_gt_u64_e64 s[0:1], s[18:19], v[122:123]
	v_cmp_le_u64_e32 vcc, s[18:19], v[122:123]
                                        ; implicit-def: $vgpr124
	s_and_saveexec_b64 s[10:11], vcc
	s_xor_b64 s[10:11], exec, s[10:11]
; %bb.9:
	s_mov_b32 s14, 0x3030304
	v_mul_hi_u32 v2, v0, s14
	v_mul_u32_u24_e32 v2, 0x55, v2
	v_sub_u32_e32 v124, v0, v2
                                        ; implicit-def: $vgpr0
                                        ; implicit-def: $vgpr2_vgpr3
; %bb.10:
	s_or_saveexec_b64 s[10:11], s[10:11]
	s_load_dwordx2 s[2:3], s[2:3], 0x0
	v_mul_u32_u24_e32 v4, 0x551, v1
	v_lshlrev_b32_e32 v250, 4, v4
	s_xor_b64 exec, exec, s[10:11]
	s_cbranch_execz .LBB0_14
; %bb.11:
	s_add_u32 s12, s12, s16
	s_addc_u32 s13, s13, s17
	s_load_dwordx2 s[12:13], s[12:13], 0x0
	s_mov_b32 s14, 0x3030304
	s_waitcnt lgkmcnt(0)
	v_mul_lo_u32 v1, s13, v122
	v_mul_lo_u32 v5, s12, v123
	v_mad_u64_u32 v[6:7], s[12:13], s12, v122, 0
	v_add3_u32 v7, v7, v5, v1
	v_mul_hi_u32 v1, v0, s14
	v_mul_u32_u24_e32 v1, 0x55, v1
	v_sub_u32_e32 v124, v0, v1
	v_lshl_add_u64 v[0:1], v[6:7], 4, s[4:5]
	v_lshl_add_u64 v[0:1], v[2:3], 4, v[0:1]
	v_lshlrev_b32_e32 v2, 4, v124
	v_mov_b32_e32 v3, 0
	v_lshl_add_u64 v[46:47], v[0:1], 0, v[2:3]
	s_movk_i32 s4, 0x1000
	v_add_co_u32_e32 v48, vcc, s4, v46
	s_movk_i32 s5, 0x2000
	s_nop 0
	v_addc_co_u32_e32 v49, vcc, 0, v47, vcc
	v_add_co_u32_e32 v50, vcc, s5, v46
	s_movk_i32 s12, 0x3000
	s_nop 0
	v_addc_co_u32_e32 v51, vcc, 0, v47, vcc
	v_add_co_u32_e32 v70, vcc, s12, v46
	global_load_dwordx4 v[6:9], v[46:47], off
	global_load_dwordx4 v[10:13], v[46:47], off offset:1360
	v_addc_co_u32_e32 v71, vcc, 0, v47, vcc
	v_add_co_u32_e32 v72, vcc, 0x4000, v46
	global_load_dwordx4 v[14:17], v[46:47], off offset:2720
	global_load_dwordx4 v[18:21], v[46:47], off offset:4080
	global_load_dwordx4 v[22:25], v[48:49], off offset:1344
	global_load_dwordx4 v[26:29], v[48:49], off offset:2704
	global_load_dwordx4 v[30:33], v[48:49], off offset:4064
	global_load_dwordx4 v[34:37], v[50:51], off offset:1328
	global_load_dwordx4 v[38:41], v[50:51], off offset:2688
	global_load_dwordx4 v[42:45], v[50:51], off offset:4048
	v_addc_co_u32_e32 v73, vcc, 0, v47, vcc
	global_load_dwordx4 v[46:49], v[70:71], off offset:1312
	global_load_dwordx4 v[50:53], v[70:71], off offset:2672
	;; [unrolled: 1-line block ×6, first 2 shown]
	s_movk_i32 s4, 0x54
	v_add3_u32 v2, 0, v250, v2
	v_cmp_eq_u32_e32 vcc, s4, v124
	s_waitcnt vmcnt(15)
	ds_write_b128 v2, v[6:9]
	s_waitcnt vmcnt(14)
	ds_write_b128 v2, v[10:13] offset:1360
	s_waitcnt vmcnt(13)
	ds_write_b128 v2, v[14:17] offset:2720
	;; [unrolled: 2-line block ×15, first 2 shown]
	s_and_saveexec_b64 s[4:5], vcc
	s_cbranch_execz .LBB0_13
; %bb.12:
	v_add_co_u32_e32 v0, vcc, 0x5000, v0
	v_mov_b32_e32 v124, 0x54
	s_nop 0
	v_addc_co_u32_e32 v1, vcc, 0, v1, vcc
	global_load_dwordx4 v[6:9], v[0:1], off offset:1280
	s_waitcnt vmcnt(0)
	ds_write_b128 v2, v[6:9] offset:20416
.LBB0_13:
	s_or_b64 exec, exec, s[4:5]
.LBB0_14:
	s_or_b64 exec, exec, s[10:11]
	v_lshl_add_u32 v252, v4, 4, 0
	v_lshlrev_b32_e32 v19, 4, v124
	v_add_u32_e32 v251, v252, v19
	s_waitcnt lgkmcnt(0)
	s_barrier
	v_sub_u32_e32 v18, v252, v19
	ds_read_b64 v[2:3], v251
	ds_read_b64 v[8:9], v18 offset:21760
	s_add_u32 s4, s8, 0x53f0
	s_addc_u32 s5, s9, 0
	v_cmp_ne_u32_e32 vcc, 0, v124
                                        ; implicit-def: $vgpr0_vgpr1
	s_waitcnt lgkmcnt(0)
	v_add_f64 v[4:5], v[2:3], v[8:9]
	v_add_f64 v[6:7], v[2:3], -v[8:9]
	s_and_saveexec_b64 s[10:11], vcc
	s_xor_b64 s[10:11], exec, s[10:11]
	s_cbranch_execz .LBB0_16
; %bb.15:
	v_mov_b32_e32 v125, 0
	v_lshl_add_u64 v[0:1], v[124:125], 4, s[4:5]
	global_load_dwordx4 v[10:13], v[0:1], off
	ds_read_b64 v[0:1], v18 offset:21768
	ds_read_b64 v[4:5], v251 offset:8
	v_add_f64 v[14:15], v[2:3], v[8:9]
	v_add_f64 v[8:9], v[2:3], -v[8:9]
	s_waitcnt lgkmcnt(0)
	v_add_f64 v[16:17], v[0:1], v[4:5]
	v_add_f64 v[2:3], v[4:5], -v[0:1]
	s_waitcnt vmcnt(0)
	v_fma_f64 v[6:7], v[16:17], v[12:13], v[2:3]
	v_fma_f64 v[0:1], -v[8:9], v[12:13], v[14:15]
	v_fma_f64 v[2:3], v[16:17], v[12:13], -v[2:3]
	v_fma_f64 v[4:5], v[8:9], v[12:13], v[14:15]
	v_fmac_f64_e32 v[0:1], v[16:17], v[10:11]
	v_fmac_f64_e32 v[2:3], v[8:9], v[10:11]
	v_fma_f64 v[4:5], -v[16:17], v[10:11], v[4:5]
	v_fmac_f64_e32 v[6:7], v[8:9], v[10:11]
	ds_write_b128 v18, v[0:3] offset:21760
	v_mov_b64_e32 v[0:1], v[124:125]
.LBB0_16:
	s_andn2_saveexec_b64 s[10:11], s[10:11]
	s_cbranch_execz .LBB0_18
; %bb.17:
	ds_read_b128 v[0:3], v252 offset:10880
	s_waitcnt lgkmcnt(0)
	v_add_f64 v[0:1], v[0:1], v[0:1]
	v_mul_f64 v[2:3], v[2:3], -2.0
	ds_write_b128 v252, v[0:3] offset:10880
	v_mov_b64_e32 v[0:1], 0
.LBB0_18:
	s_or_b64 exec, exec, s[10:11]
	v_lshl_add_u64 v[16:17], v[0:1], 4, s[4:5]
	global_load_dwordx4 v[12:15], v[16:17], off offset:1360
	global_load_dwordx4 v[0:3], v[16:17], off offset:2720
	;; [unrolled: 1-line block ×3, first 2 shown]
	s_movk_i32 s4, 0x1000
	v_add_co_u32_e32 v32, vcc, s4, v16
	ds_write_b128 v251, v[4:7]
	s_nop 0
	v_addc_co_u32_e32 v33, vcc, 0, v17, vcc
	global_load_dwordx4 v[20:23], v[32:33], off offset:1344
	ds_read_b128 v[4:7], v251 offset:1360
	ds_read_b128 v[24:27], v18 offset:20400
	global_load_dwordx4 v[28:31], v[32:33], off offset:2704
	s_movk_i32 s4, 0x2000
	v_add3_u32 v125, 0, v19, v250
	s_mov_b32 s16, 0x5d8e7cdc
	s_waitcnt lgkmcnt(0)
	v_add_f64 v[34:35], v[4:5], v[24:25]
	v_add_f64 v[36:37], v[26:27], v[6:7]
	v_add_f64 v[38:39], v[4:5], -v[24:25]
	v_add_f64 v[4:5], v[6:7], -v[26:27]
	s_mov_b32 s17, 0xbfd71e95
	s_mov_b32 s14, 0x2a9d6da3
	;; [unrolled: 1-line block ×37, first 2 shown]
	s_movk_i32 s20, 0x50
	s_waitcnt vmcnt(4)
	v_fma_f64 v[40:41], v[38:39], v[14:15], v[34:35]
	v_fma_f64 v[6:7], v[36:37], v[14:15], v[4:5]
	v_fma_f64 v[24:25], -v[38:39], v[14:15], v[34:35]
	v_fma_f64 v[26:27], v[36:37], v[14:15], -v[4:5]
	v_fma_f64 v[4:5], -v[36:37], v[12:13], v[40:41]
	v_fmac_f64_e32 v[6:7], v[38:39], v[12:13]
	v_fmac_f64_e32 v[24:25], v[36:37], v[12:13]
	;; [unrolled: 1-line block ×3, first 2 shown]
	ds_write_b128 v251, v[4:7] offset:1360
	ds_write_b128 v18, v[24:27] offset:20400
	ds_read_b128 v[4:7], v251 offset:2720
	ds_read_b128 v[12:15], v18 offset:19040
	global_load_dwordx4 v[24:27], v[32:33], off offset:4064
	s_waitcnt lgkmcnt(0)
	v_add_f64 v[32:33], v[4:5], v[12:13]
	v_add_f64 v[34:35], v[14:15], v[6:7]
	v_add_f64 v[36:37], v[4:5], -v[12:13]
	v_add_f64 v[6:7], v[6:7], -v[14:15]
	s_waitcnt vmcnt(4)
	v_fma_f64 v[38:39], v[36:37], v[2:3], v[32:33]
	v_fma_f64 v[4:5], v[34:35], v[2:3], v[6:7]
	v_fma_f64 v[12:13], -v[36:37], v[2:3], v[32:33]
	v_fma_f64 v[14:15], v[34:35], v[2:3], -v[6:7]
	v_fma_f64 v[2:3], -v[34:35], v[0:1], v[38:39]
	v_fmac_f64_e32 v[4:5], v[36:37], v[0:1]
	v_fmac_f64_e32 v[12:13], v[34:35], v[0:1]
	;; [unrolled: 1-line block ×3, first 2 shown]
	ds_write_b128 v251, v[2:5] offset:2720
	ds_write_b128 v18, v[12:15] offset:19040
	v_add_co_u32_e32 v12, vcc, s4, v16
	ds_read_b128 v[0:3], v251 offset:4080
	ds_read_b128 v[4:7], v18 offset:17680
	v_addc_co_u32_e32 v13, vcc, 0, v17, vcc
	global_load_dwordx4 v[12:15], v[12:13], off offset:1328
	s_mov_b32 s4, 0x370991
	s_waitcnt lgkmcnt(0)
	v_add_f64 v[16:17], v[0:1], v[4:5]
	v_add_f64 v[32:33], v[6:7], v[2:3]
	v_add_f64 v[34:35], v[0:1], -v[4:5]
	v_add_f64 v[0:1], v[2:3], -v[6:7]
	s_waitcnt vmcnt(4)
	v_fma_f64 v[36:37], v[34:35], v[10:11], v[16:17]
	v_fma_f64 v[2:3], v[32:33], v[10:11], v[0:1]
	v_fma_f64 v[4:5], -v[34:35], v[10:11], v[16:17]
	v_fma_f64 v[6:7], v[32:33], v[10:11], -v[0:1]
	v_fma_f64 v[0:1], -v[32:33], v[8:9], v[36:37]
	v_fmac_f64_e32 v[2:3], v[34:35], v[8:9]
	v_fmac_f64_e32 v[4:5], v[32:33], v[8:9]
	;; [unrolled: 1-line block ×3, first 2 shown]
	ds_write_b128 v251, v[0:3] offset:4080
	ds_write_b128 v18, v[4:7] offset:17680
	ds_read_b128 v[0:3], v251 offset:5440
	ds_read_b128 v[4:7], v18 offset:16320
	s_mov_b32 s5, 0x3fedd6d0
	v_cmp_gt_u32_e32 vcc, s20, v124
	s_waitcnt lgkmcnt(0)
	v_add_f64 v[8:9], v[0:1], v[4:5]
	v_add_f64 v[10:11], v[6:7], v[2:3]
	v_add_f64 v[16:17], v[0:1], -v[4:5]
	v_add_f64 v[0:1], v[2:3], -v[6:7]
	s_waitcnt vmcnt(3)
	v_fma_f64 v[32:33], v[16:17], v[22:23], v[8:9]
	v_fma_f64 v[2:3], v[10:11], v[22:23], v[0:1]
	v_fma_f64 v[4:5], -v[16:17], v[22:23], v[8:9]
	v_fma_f64 v[6:7], v[10:11], v[22:23], -v[0:1]
	v_fma_f64 v[0:1], -v[10:11], v[20:21], v[32:33]
	v_fmac_f64_e32 v[2:3], v[16:17], v[20:21]
	v_fmac_f64_e32 v[4:5], v[10:11], v[20:21]
	v_fmac_f64_e32 v[6:7], v[16:17], v[20:21]
	ds_write_b128 v251, v[0:3] offset:5440
	ds_write_b128 v18, v[4:7] offset:16320
	ds_read_b128 v[0:3], v251 offset:6800
	ds_read_b128 v[4:7], v18 offset:14960
	s_waitcnt lgkmcnt(0)
	v_add_f64 v[8:9], v[0:1], v[4:5]
	v_add_f64 v[10:11], v[6:7], v[2:3]
	v_add_f64 v[16:17], v[0:1], -v[4:5]
	v_add_f64 v[0:1], v[2:3], -v[6:7]
	s_waitcnt vmcnt(2)
	v_fma_f64 v[20:21], v[16:17], v[30:31], v[8:9]
	v_fma_f64 v[2:3], v[10:11], v[30:31], v[0:1]
	v_fma_f64 v[4:5], -v[16:17], v[30:31], v[8:9]
	v_fma_f64 v[6:7], v[10:11], v[30:31], -v[0:1]
	v_fma_f64 v[0:1], -v[10:11], v[28:29], v[20:21]
	v_fmac_f64_e32 v[2:3], v[16:17], v[28:29]
	v_fmac_f64_e32 v[4:5], v[10:11], v[28:29]
	v_fmac_f64_e32 v[6:7], v[16:17], v[28:29]
	ds_write_b128 v251, v[0:3] offset:6800
	ds_write_b128 v18, v[4:7] offset:14960
	ds_read_b128 v[0:3], v251 offset:8160
	ds_read_b128 v[4:7], v18 offset:13600
	;; [unrolled: 18-line block ×3, first 2 shown]
	s_waitcnt lgkmcnt(0)
	v_add_f64 v[8:9], v[0:1], v[4:5]
	v_add_f64 v[10:11], v[6:7], v[2:3]
	v_add_f64 v[16:17], v[0:1], -v[4:5]
	v_add_f64 v[0:1], v[2:3], -v[6:7]
	s_waitcnt vmcnt(0)
	v_fma_f64 v[20:21], v[16:17], v[14:15], v[8:9]
	v_fma_f64 v[2:3], v[10:11], v[14:15], v[0:1]
	v_fma_f64 v[4:5], -v[16:17], v[14:15], v[8:9]
	v_fma_f64 v[6:7], v[10:11], v[14:15], -v[0:1]
	v_fma_f64 v[0:1], -v[10:11], v[12:13], v[20:21]
	v_fmac_f64_e32 v[2:3], v[16:17], v[12:13]
	v_fmac_f64_e32 v[4:5], v[10:11], v[12:13]
	v_fmac_f64_e32 v[6:7], v[16:17], v[12:13]
	ds_write_b128 v251, v[0:3] offset:9520
	ds_write_b128 v18, v[4:7] offset:12240
	s_waitcnt lgkmcnt(0)
	s_barrier
	s_barrier
	ds_read_b128 v[8:11], v125 offset:20480
	ds_read_b128 v[12:15], v125 offset:1280
	ds_read_b128 v[16:19], v251
	ds_read_b128 v[20:23], v125 offset:2560
	ds_read_b128 v[24:27], v125 offset:3840
	;; [unrolled: 1-line block ×4, first 2 shown]
	s_waitcnt lgkmcnt(5)
	v_add_f64 v[116:117], v[14:15], -v[10:11]
	ds_read_b128 v[36:39], v125 offset:16640
	ds_read_b128 v[40:43], v125 offset:5120
	v_add_f64 v[138:139], v[12:13], v[8:9]
	v_add_f64 v[148:149], v[14:15], v[10:11]
	v_mul_f64 v[78:79], v[116:117], s[16:17]
	s_waitcnt lgkmcnt(3)
	v_add_f64 v[118:119], v[22:23], -v[30:31]
	v_add_f64 v[142:143], v[12:13], -v[8:9]
	v_mul_f64 v[80:81], v[148:149], s[4:5]
	v_fma_f64 v[0:1], v[138:139], s[4:5], -v[78:79]
	v_add_f64 v[154:155], v[20:21], v[28:29]
	v_add_f64 v[162:163], v[22:23], v[30:31]
	v_mul_f64 v[82:83], v[118:119], s[14:15]
	ds_read_b128 v[44:47], v125 offset:6400
	ds_read_b128 v[48:51], v125 offset:15360
	v_add_f64 v[0:1], v[16:17], v[0:1]
	v_fma_f64 v[2:3], s[16:17], v[142:143], v[80:81]
	v_add_f64 v[156:157], v[20:21], -v[28:29]
	v_mul_f64 v[84:85], v[162:163], s[10:11]
	v_fma_f64 v[4:5], v[154:155], s[10:11], -v[82:83]
	s_waitcnt lgkmcnt(4)
	v_add_f64 v[182:183], v[26:27], -v[34:35]
	v_add_f64 v[2:3], v[18:19], v[2:3]
	v_add_f64 v[0:1], v[4:5], v[0:1]
	v_fma_f64 v[4:5], s[14:15], v[156:157], v[84:85]
	v_add_f64 v[152:153], v[24:25], v[32:33]
	v_mul_f64 v[86:87], v[182:183], s[22:23]
	v_add_f64 v[174:175], v[26:27], v[34:35]
	ds_read_b128 v[52:55], v125 offset:14080
	ds_read_b128 v[56:59], v125 offset:7680
	v_add_f64 v[2:3], v[4:5], v[2:3]
	v_fma_f64 v[4:5], v[152:153], s[12:13], -v[86:87]
	v_add_f64 v[158:159], v[24:25], -v[32:33]
	v_mul_f64 v[88:89], v[174:175], s[12:13]
	s_waitcnt lgkmcnt(4)
	v_add_f64 v[218:219], v[42:43], -v[38:39]
	v_add_f64 v[0:1], v[4:5], v[0:1]
	v_fma_f64 v[4:5], s[22:23], v[158:159], v[88:89]
	v_add_f64 v[170:171], v[40:41], v[36:37]
	v_mul_f64 v[90:91], v[218:219], s[24:25]
	v_add_f64 v[206:207], v[42:43], v[38:39]
	ds_read_b128 v[60:63], v125 offset:8960
	ds_read_b128 v[64:67], v125 offset:12800
	v_add_f64 v[2:3], v[4:5], v[2:3]
	v_fma_f64 v[4:5], v[170:171], s[18:19], -v[90:91]
	v_add_f64 v[176:177], v[40:41], -v[36:37]
	v_mul_f64 v[94:95], v[206:207], s[18:19]
	s_waitcnt lgkmcnt(4)
	v_add_f64 v[226:227], v[46:47], -v[50:51]
	;; [unrolled: 13-line block ×3, first 2 shown]
	v_add_f64 v[0:1], v[4:5], v[0:1]
	v_fma_f64 v[4:5], s[28:29], v[178:179], v[150:151]
	v_add_f64 v[190:191], v[56:57], v[52:53]
	v_mul_f64 v[160:161], v[240:241], s[30:31]
	v_add_f64 v[238:239], v[58:59], v[54:55]
	v_add_f64 v[2:3], v[4:5], v[2:3]
	v_fma_f64 v[4:5], v[190:191], s[34:35], -v[160:161]
	v_add_f64 v[196:197], v[56:57], -v[52:53]
	v_mul_f64 v[166:167], v[238:239], s[34:35]
	s_waitcnt lgkmcnt(2)
	v_add_f64 v[244:245], v[62:63], -v[66:67]
	v_add_f64 v[0:1], v[4:5], v[0:1]
	v_fma_f64 v[4:5], s[30:31], v[196:197], v[166:167]
	v_add_f64 v[186:187], v[60:61], v[64:65]
	v_mul_f64 v[164:165], v[244:245], s[36:37]
	v_add_f64 v[242:243], v[62:63], v[66:67]
	v_add_f64 v[2:3], v[4:5], v[2:3]
	v_fma_f64 v[4:5], v[186:187], s[38:39], -v[164:165]
	v_add_f64 v[194:195], v[60:61], -v[64:65]
	v_mul_f64 v[172:173], v[242:243], s[38:39]
	s_waitcnt lgkmcnt(0)
	v_add_f64 v[248:249], v[70:71], -v[74:75]
	v_add_f64 v[0:1], v[4:5], v[0:1]
	v_fma_f64 v[4:5], s[36:37], v[194:195], v[172:173]
	v_add_f64 v[202:203], v[68:69], v[72:73]
	v_mul_f64 v[180:181], v[248:249], s[50:51]
	v_add_f64 v[246:247], v[70:71], v[74:75]
	v_add_f64 v[2:3], v[4:5], v[2:3]
	v_fma_f64 v[4:5], v[202:203], s[40:41], -v[180:181]
	v_add_f64 v[216:217], v[68:69], -v[72:73]
	v_mul_f64 v[184:185], v[246:247], s[40:41]
	v_add_f64 v[0:1], v[4:5], v[0:1]
	v_fma_f64 v[4:5], s[50:51], v[216:217], v[184:185]
	v_mul_f64 v[188:189], v[116:117], s[14:15]
	v_add_f64 v[2:3], v[4:5], v[2:3]
	v_fma_f64 v[4:5], v[138:139], s[10:11], -v[188:189]
	v_mul_f64 v[192:193], v[118:119], s[24:25]
	v_add_f64 v[4:5], v[16:17], v[4:5]
	v_fma_f64 v[6:7], v[154:155], s[18:19], -v[192:193]
	v_mul_f64 v[204:205], v[148:149], s[10:11]
	v_add_f64 v[4:5], v[6:7], v[4:5]
	v_fma_f64 v[6:7], s[14:15], v[142:143], v[204:205]
	v_mul_f64 v[208:209], v[162:163], s[18:19]
	v_add_f64 v[6:7], v[18:19], v[6:7]
	v_fma_f64 v[76:77], s[24:25], v[156:157], v[208:209]
	v_mul_f64 v[198:199], v[182:183], s[30:31]
	v_add_f64 v[6:7], v[76:77], v[6:7]
	v_fma_f64 v[76:77], v[152:153], s[34:35], -v[198:199]
	v_mul_f64 v[212:213], v[174:175], s[34:35]
	v_add_f64 v[4:5], v[76:77], v[4:5]
	v_fma_f64 v[76:77], s[30:31], v[158:159], v[212:213]
	v_mul_f64 v[200:201], v[218:219], s[50:51]
	v_add_f64 v[6:7], v[76:77], v[6:7]
	v_fma_f64 v[76:77], v[170:171], s[40:41], -v[200:201]
	;; [unrolled: 6-line block ×6, first 2 shown]
	v_mul_f64 v[236:237], v[246:247], s[4:5]
	v_add_f64 v[4:5], v[76:77], v[4:5]
	v_fma_f64 v[76:77], s[48:49], v[216:217], v[236:237]
	v_add_f64 v[6:7], v[76:77], v[6:7]
	s_barrier
	s_and_saveexec_b64 s[20:21], vcc
	s_cbranch_execz .LBB0_20
; %bb.19:
	v_mul_f64 v[104:105], v[142:143], s[50:51]
	v_mul_f64 v[100:101], v[156:157], s[48:49]
	v_fma_f64 v[106:107], s[40:41], v[148:149], v[104:105]
	v_mul_f64 v[114:115], v[116:117], s[50:51]
	s_mov_b32 s53, 0x3fe58eea
	s_mov_b32 s52, s14
	v_accvgpr_write_b32 a18, v92
	v_mul_f64 v[96:97], v[158:159], s[36:37]
	v_fma_f64 v[102:103], s[4:5], v[162:163], v[100:101]
	v_add_f64 v[106:107], v[18:19], v[106:107]
	v_mul_f64 v[110:111], v[118:119], s[48:49]
	v_fma_f64 v[254:255], v[138:139], s[40:41], -v[114:115]
	v_accvgpr_write_b32 a24, v88
	v_accvgpr_write_b32 a19, v93
	v_mul_f64 v[92:93], v[176:177], s[52:53]
	v_accvgpr_write_b32 a26, v94
	v_fma_f64 v[98:99], s[38:39], v[174:175], v[96:97]
	v_add_f64 v[102:103], v[102:103], v[106:107]
	v_mul_f64 v[108:109], v[182:183], s[36:37]
	v_fma_f64 v[112:113], v[154:155], s[4:5], -v[110:111]
	v_add_f64 v[254:255], v[16:17], v[254:255]
	v_accvgpr_write_b32 a22, v84
	v_accvgpr_write_b32 a25, v89
	v_mul_f64 v[88:89], v[178:179], s[30:31]
	v_accvgpr_write_b32 a16, v90
	v_accvgpr_write_b32 a27, v95
	v_fma_f64 v[94:95], s[10:11], v[206:207], v[92:93]
	v_add_f64 v[98:99], v[98:99], v[102:103]
	v_mul_f64 v[106:107], v[218:219], s[52:53]
	v_add_f64 v[112:113], v[112:113], v[254:255]
	v_fma_f64 v[254:255], v[152:153], s[38:39], -v[108:109]
	v_accvgpr_write_b32 a12, v82
	v_accvgpr_write_b32 a23, v85
	v_mul_f64 v[84:85], v[196:197], s[44:45]
	v_accvgpr_write_b32 a14, v86
	v_accvgpr_write_b32 a17, v91
	v_fma_f64 v[90:91], s[34:35], v[222:223], v[88:89]
	v_add_f64 v[94:95], v[94:95], v[98:99]
	v_mul_f64 v[102:103], v[226:227], s[30:31]
	v_add_f64 v[112:113], v[254:255], v[112:113]
	v_fma_f64 v[254:255], v[170:171], s[10:11], -v[106:107]
	s_mov_b32 s57, 0x3fefdd0d
	s_mov_b32 s56, s24
	v_accvgpr_write_b32 a20, v80
	v_accvgpr_write_b32 a13, v83
	v_mul_f64 v[82:83], v[194:195], s[28:29]
	v_accvgpr_write_b32 a10, v78
	v_accvgpr_write_b32 a15, v87
	v_fma_f64 v[86:87], s[12:13], v[238:239], v[84:85]
	v_add_f64 v[90:91], v[90:91], v[94:95]
	v_mul_f64 v[98:99], v[240:241], s[44:45]
	v_add_f64 v[112:113], v[254:255], v[112:113]
	v_fma_f64 v[254:255], v[168:169], s[34:35], -v[102:103]
	v_accvgpr_write_b32 a21, v81
	v_mul_f64 v[80:81], v[216:217], s[56:57]
	v_accvgpr_write_b32 a11, v79
	v_fma_f64 v[78:79], s[26:27], v[242:243], v[82:83]
	v_add_f64 v[86:87], v[86:87], v[90:91]
	v_mul_f64 v[90:91], v[244:245], s[28:29]
	v_add_f64 v[112:113], v[254:255], v[112:113]
	v_fma_f64 v[254:255], v[190:191], s[12:13], -v[98:99]
	v_fma_f64 v[76:77], s[18:19], v[246:247], v[80:81]
	v_add_f64 v[78:79], v[78:79], v[86:87]
	v_mul_f64 v[86:87], v[248:249], s[56:57]
	v_fma_f64 v[94:95], v[186:187], s[26:27], -v[90:91]
	v_add_f64 v[112:113], v[254:255], v[112:113]
	v_add_f64 v[78:79], v[76:77], v[78:79]
	v_fma_f64 v[76:77], v[202:203], s[18:19], -v[86:87]
	v_add_f64 v[94:95], v[94:95], v[112:113]
	v_add_f64 v[76:77], v[76:77], v[94:95]
	v_fma_f64 v[94:95], v[174:175], s[38:39], -v[96:97]
	v_fma_f64 v[96:97], v[162:163], s[4:5], -v[100:101]
	v_fma_f64 v[100:101], v[148:149], s[40:41], -v[104:105]
	v_add_f64 v[100:101], v[18:19], v[100:101]
	v_add_f64 v[96:97], v[96:97], v[100:101]
	v_fma_f64 v[92:93], v[206:207], s[10:11], -v[92:93]
	v_add_f64 v[94:95], v[94:95], v[96:97]
	v_fma_f64 v[88:89], v[222:223], s[34:35], -v[88:89]
	;; [unrolled: 2-line block ×4, first 2 shown]
	v_add_f64 v[84:85], v[84:85], v[88:89]
	v_accvgpr_write_b32 a2, v76
	v_fma_f64 v[80:81], v[246:247], s[18:19], -v[80:81]
	v_add_f64 v[82:83], v[82:83], v[84:85]
	v_fmac_f64_e32 v[114:115], s[40:41], v[138:139]
	v_accvgpr_write_b32 a3, v77
	v_accvgpr_write_b32 a4, v78
	;; [unrolled: 1-line block ×3, first 2 shown]
	v_add_f64 v[78:79], v[80:81], v[82:83]
	v_fmac_f64_e32 v[110:111], s[4:5], v[154:155]
	v_add_f64 v[80:81], v[16:17], v[114:115]
	v_fmac_f64_e32 v[108:109], s[38:39], v[152:153]
	;; [unrolled: 2-line block ×3, first 2 shown]
	v_add_f64 v[80:81], v[108:109], v[80:81]
	v_mul_f64 v[110:111], v[142:143], s[36:37]
	v_fmac_f64_e32 v[102:103], s[34:35], v[168:169]
	v_add_f64 v[80:81], v[106:107], v[80:81]
	v_mul_f64 v[106:107], v[156:157], s[44:45]
	v_fma_f64 v[112:113], s[38:39], v[148:149], v[110:111]
	v_fmac_f64_e32 v[98:99], s[12:13], v[190:191]
	v_add_f64 v[80:81], v[102:103], v[80:81]
	s_mov_b32 s55, 0x3fe9895b
	s_mov_b32 s54, s30
	v_mul_f64 v[102:103], v[158:159], s[24:25]
	v_fma_f64 v[108:109], s[12:13], v[162:163], v[106:107]
	v_add_f64 v[112:113], v[18:19], v[112:113]
	v_add_f64 v[80:81], v[98:99], v[80:81]
	v_mul_f64 v[98:99], v[176:177], s[54:55]
	v_fma_f64 v[104:105], s[18:19], v[174:175], v[102:103]
	v_add_f64 v[108:109], v[108:109], v[112:113]
	v_fmac_f64_e32 v[90:91], s[26:27], v[186:187]
	v_mul_f64 v[94:95], v[178:179], s[16:17]
	v_fma_f64 v[100:101], s[34:35], v[206:207], v[98:99]
	v_add_f64 v[104:105], v[104:105], v[108:109]
	v_fmac_f64_e32 v[86:87], s[18:19], v[202:203]
	v_add_f64 v[80:81], v[90:91], v[80:81]
	v_mul_f64 v[92:93], v[196:197], s[50:51]
	v_fma_f64 v[96:97], s[4:5], v[222:223], v[94:95]
	v_add_f64 v[100:101], v[100:101], v[104:105]
	v_add_f64 v[76:77], v[86:87], v[80:81]
	v_mul_f64 v[90:91], v[194:195], s[52:53]
	v_fma_f64 v[86:87], s[40:41], v[238:239], v[92:93]
	v_add_f64 v[96:97], v[96:97], v[100:101]
	v_mul_f64 v[254:255], v[116:117], s[36:37]
	v_fma_f64 v[84:85], s[10:11], v[242:243], v[90:91]
	v_add_f64 v[86:87], v[86:87], v[96:97]
	v_mul_f64 v[114:115], v[118:119], s[44:45]
	v_accvgpr_write_b32 a0, v252
	v_fma_f64 v[252:253], v[138:139], s[38:39], -v[254:255]
	v_fma_f64 v[110:111], v[148:149], s[38:39], -v[110:111]
	v_add_f64 v[84:85], v[84:85], v[86:87]
	v_mul_f64 v[112:113], v[182:183], s[24:25]
	v_fma_f64 v[86:87], v[154:155], s[12:13], -v[114:115]
	v_add_f64 v[252:253], v[16:17], v[252:253]
	v_fma_f64 v[106:107], v[162:163], s[12:13], -v[106:107]
	v_add_f64 v[110:111], v[18:19], v[110:111]
	v_mul_f64 v[108:109], v[218:219], s[54:55]
	v_add_f64 v[86:87], v[86:87], v[252:253]
	v_fma_f64 v[252:253], v[152:153], s[18:19], -v[112:113]
	v_fma_f64 v[102:103], v[174:175], s[18:19], -v[102:103]
	v_add_f64 v[106:107], v[106:107], v[110:111]
	v_mul_f64 v[104:105], v[226:227], s[16:17]
	v_add_f64 v[86:87], v[252:253], v[86:87]
	v_fma_f64 v[252:253], v[170:171], s[34:35], -v[108:109]
	;; [unrolled: 5-line block ×5, first 2 shown]
	v_fma_f64 v[90:91], v[242:243], s[10:11], -v[90:91]
	v_add_f64 v[92:93], v[92:93], v[94:95]
	v_add_f64 v[252:253], v[252:253], v[86:87]
	v_fma_f64 v[86:87], s[26:27], v[246:247], v[88:89]
	v_fma_f64 v[88:89], v[246:247], s[26:27], -v[88:89]
	v_add_f64 v[90:91], v[90:91], v[92:93]
	v_fmac_f64_e32 v[254:255], s[38:39], v[138:139]
	v_add_f64 v[90:91], v[88:89], v[90:91]
	v_fmac_f64_e32 v[114:115], s[12:13], v[154:155]
	v_add_f64 v[88:89], v[16:17], v[254:255]
	v_fmac_f64_e32 v[112:113], s[18:19], v[152:153]
	v_add_f64 v[88:89], v[114:115], v[88:89]
	v_fmac_f64_e32 v[108:109], s[34:35], v[170:171]
	v_add_f64 v[88:89], v[112:113], v[88:89]
	v_fmac_f64_e32 v[104:105], s[4:5], v[168:169]
	v_add_f64 v[88:89], v[108:109], v[88:89]
	v_fmac_f64_e32 v[100:101], s[40:41], v[190:191]
	v_add_f64 v[88:89], v[104:105], v[88:89]
	v_mul_f64 v[126:127], v[248:249], s[28:29]
	v_fmac_f64_e32 v[96:97], s[10:11], v[186:187]
	v_add_f64 v[88:89], v[100:101], v[88:89]
	v_add_f64 v[86:87], v[86:87], v[84:85]
	v_fma_f64 v[84:85], v[202:203], s[26:27], -v[126:127]
	v_fmac_f64_e32 v[126:127], s[26:27], v[202:203]
	v_add_f64 v[88:89], v[96:97], v[88:89]
	v_add_f64 v[88:89], v[126:127], v[88:89]
	v_mul_f64 v[126:127], v[142:143], s[30:31]
	v_add_f64 v[84:85], v[84:85], v[252:253]
	v_mul_f64 v[112:113], v[156:157], s[46:47]
	v_fma_f64 v[252:253], s[34:35], v[148:149], v[126:127]
	v_mul_f64 v[108:109], v[158:159], s[16:17]
	v_fma_f64 v[114:115], s[26:27], v[162:163], v[112:113]
	v_add_f64 v[252:253], v[18:19], v[252:253]
	v_mul_f64 v[104:105], v[176:177], s[36:37]
	v_fma_f64 v[110:111], s[4:5], v[174:175], v[108:109]
	v_add_f64 v[114:115], v[114:115], v[252:253]
	;; [unrolled: 3-line block ×6, first 2 shown]
	v_mul_f64 v[110:111], v[118:119], s[46:47]
	v_fma_f64 v[252:253], v[138:139], s[34:35], -v[114:115]
	v_add_f64 v[92:93], v[92:93], v[94:95]
	v_mul_f64 v[106:107], v[182:183], s[16:17]
	v_fma_f64 v[94:95], v[154:155], s[26:27], -v[110:111]
	v_add_f64 v[252:253], v[16:17], v[252:253]
	v_mul_f64 v[102:103], v[218:219], s[36:37]
	v_add_f64 v[94:95], v[94:95], v[252:253]
	v_fma_f64 v[252:253], v[152:153], s[4:5], -v[106:107]
	v_add_f64 v[94:95], v[252:253], v[94:95]
	v_fma_f64 v[252:253], v[170:171], s[38:39], -v[102:103]
	v_add_f64 v[94:95], v[252:253], v[94:95]
	v_mul_f64 v[252:253], v[226:227], s[56:57]
	v_fma_f64 v[254:255], v[168:169], s[18:19], -v[252:253]
	v_add_f64 v[94:95], v[254:255], v[94:95]
	v_mul_f64 v[254:255], v[240:241], s[14:15]
	v_fma_f64 v[128:129], v[190:191], s[10:11], -v[254:255]
	v_accvgpr_write_b32 a6, v76
	v_add_f64 v[94:95], v[128:129], v[94:95]
	v_mul_f64 v[128:129], v[244:245], s[50:51]
	v_accvgpr_write_b32 a7, v77
	v_accvgpr_write_b32 a8, v78
	v_accvgpr_write_b32 a9, v79
	v_fma_f64 v[76:77], v[186:187], s[40:41], -v[128:129]
	v_mul_f64 v[78:79], v[216:217], s[44:45]
	v_add_f64 v[76:77], v[76:77], v[94:95]
	v_fma_f64 v[94:95], s[12:13], v[246:247], v[78:79]
	v_mul_f64 v[130:131], v[248:249], s[44:45]
	v_add_f64 v[94:95], v[94:95], v[92:93]
	v_fma_f64 v[92:93], v[202:203], s[12:13], -v[130:131]
	v_add_f64 v[92:93], v[92:93], v[76:77]
	v_fma_f64 v[76:77], v[162:163], s[26:27], -v[112:113]
	v_fma_f64 v[112:113], v[148:149], s[34:35], -v[126:127]
	v_add_f64 v[112:113], v[18:19], v[112:113]
	v_add_f64 v[76:77], v[76:77], v[112:113]
	v_fma_f64 v[108:109], v[174:175], s[4:5], -v[108:109]
	v_add_f64 v[76:77], v[108:109], v[76:77]
	v_fma_f64 v[104:105], v[206:207], s[38:39], -v[104:105]
	;; [unrolled: 2-line block ×4, first 2 shown]
	v_fma_f64 v[96:97], v[242:243], s[40:41], -v[96:97]
	v_add_f64 v[76:77], v[98:99], v[76:77]
	v_fma_f64 v[78:79], v[246:247], s[12:13], -v[78:79]
	v_add_f64 v[76:77], v[96:97], v[76:77]
	v_fmac_f64_e32 v[114:115], s[34:35], v[138:139]
	v_add_f64 v[98:99], v[78:79], v[76:77]
	v_fmac_f64_e32 v[110:111], s[26:27], v[154:155]
	;; [unrolled: 2-line block ×4, first 2 shown]
	v_add_f64 v[76:77], v[106:107], v[76:77]
	v_mul_f64 v[114:115], v[142:143], s[28:29]
	v_add_f64 v[76:77], v[102:103], v[76:77]
	v_mul_f64 v[112:113], v[156:157], s[42:43]
	v_fma_f64 v[102:103], s[26:27], v[148:149], v[114:115]
	v_fmac_f64_e32 v[252:253], s[18:19], v[168:169]
	v_mul_f64 v[110:111], v[158:159], s[52:53]
	v_fma_f64 v[100:101], s[38:39], v[162:163], v[112:113]
	v_add_f64 v[102:103], v[18:19], v[102:103]
	v_fmac_f64_e32 v[254:255], s[10:11], v[190:191]
	v_add_f64 v[76:77], v[252:253], v[76:77]
	v_mul_f64 v[108:109], v[176:177], s[22:23]
	v_add_f64 v[100:101], v[100:101], v[102:103]
	v_fma_f64 v[102:103], s[10:11], v[174:175], v[110:111]
	v_fmac_f64_e32 v[128:129], s[40:41], v[186:187]
	v_add_f64 v[76:77], v[254:255], v[76:77]
	v_mul_f64 v[106:107], v[178:179], s[50:51]
	v_add_f64 v[100:101], v[102:103], v[100:101]
	v_fma_f64 v[102:103], s[12:13], v[206:207], v[108:109]
	;; [unrolled: 5-line block ×3, first 2 shown]
	v_add_f64 v[96:97], v[130:131], v[76:77]
	v_mul_f64 v[76:77], v[194:195], s[16:17]
	v_add_f64 v[100:101], v[102:103], v[100:101]
	v_fma_f64 v[102:103], s[18:19], v[238:239], v[104:105]
	v_fma_f64 v[78:79], s[4:5], v[242:243], v[76:77]
	v_add_f64 v[100:101], v[102:103], v[100:101]
	v_mul_f64 v[126:127], v[116:117], s[28:29]
	v_add_f64 v[78:79], v[78:79], v[100:101]
	v_fma_f64 v[100:101], v[138:139], s[26:27], -v[126:127]
	v_mul_f64 v[128:129], v[118:119], s[42:43]
	v_add_f64 v[100:101], v[16:17], v[100:101]
	v_fma_f64 v[102:103], v[154:155], s[38:39], -v[128:129]
	;; [unrolled: 3-line block ×7, first 2 shown]
	v_mul_f64 v[136:137], v[216:217], s[30:31]
	v_add_f64 v[100:101], v[102:103], v[100:101]
	v_fma_f64 v[102:103], s[34:35], v[246:247], v[136:137]
	v_add_f64 v[102:103], v[102:103], v[78:79]
	v_mul_f64 v[78:79], v[248:249], s[30:31]
	v_fma_f64 v[80:81], v[202:203], s[34:35], -v[78:79]
	v_fma_f64 v[82:83], v[148:149], s[26:27], -v[114:115]
	v_add_f64 v[100:101], v[80:81], v[100:101]
	v_fma_f64 v[80:81], v[162:163], s[38:39], -v[112:113]
	v_add_f64 v[82:83], v[18:19], v[82:83]
	v_add_f64 v[80:81], v[80:81], v[82:83]
	v_fma_f64 v[82:83], v[174:175], s[10:11], -v[110:111]
	v_add_f64 v[80:81], v[82:83], v[80:81]
	v_fma_f64 v[82:83], v[206:207], s[12:13], -v[108:109]
	;; [unrolled: 2-line block ×5, first 2 shown]
	v_fmac_f64_e32 v[126:127], s[26:27], v[138:139]
	v_add_f64 v[76:77], v[76:77], v[80:81]
	v_fmac_f64_e32 v[128:129], s[38:39], v[154:155]
	v_add_f64 v[80:81], v[16:17], v[126:127]
	v_add_f64 v[80:81], v[128:129], v[80:81]
	v_fmac_f64_e32 v[130:131], s[10:11], v[152:153]
	v_add_f64 v[80:81], v[130:131], v[80:81]
	v_fma_f64 v[82:83], v[246:247], s[34:35], -v[136:137]
	v_fmac_f64_e32 v[252:253], s[12:13], v[170:171]
	v_add_f64 v[106:107], v[82:83], v[76:77]
	v_fmac_f64_e32 v[254:255], s[40:41], v[168:169]
	v_add_f64 v[76:77], v[252:253], v[80:81]
	;; [unrolled: 2-line block ×4, first 2 shown]
	v_mul_f64 v[112:113], v[142:143], s[24:25]
	v_fmac_f64_e32 v[78:79], s[34:35], v[202:203]
	v_add_f64 v[76:77], v[134:135], v[76:77]
	v_mul_f64 v[80:81], v[156:157], s[50:51]
	v_fma_f64 v[108:109], s[18:19], v[148:149], v[112:113]
	v_add_f64 v[104:105], v[78:79], v[76:77]
	v_mul_f64 v[78:79], v[158:159], s[46:47]
	v_fma_f64 v[82:83], s[40:41], v[162:163], v[80:81]
	v_add_f64 v[108:109], v[18:19], v[108:109]
	v_mul_f64 v[76:77], v[176:177], s[48:49]
	v_add_f64 v[82:83], v[82:83], v[108:109]
	v_fma_f64 v[108:109], s[26:27], v[174:175], v[78:79]
	v_add_f64 v[82:83], v[108:109], v[82:83]
	v_fma_f64 v[108:109], s[4:5], v[206:207], v[76:77]
	v_mul_f64 v[114:115], v[178:179], s[22:23]
	v_fma_f64 v[112:113], v[148:149], s[18:19], -v[112:113]
	v_add_f64 v[82:83], v[108:109], v[82:83]
	v_fma_f64 v[108:109], s[12:13], v[222:223], v[114:115]
	v_mul_f64 v[126:127], v[196:197], s[36:37]
	v_fma_f64 v[80:81], v[162:163], s[40:41], -v[80:81]
	v_add_f64 v[112:113], v[18:19], v[112:113]
	v_add_f64 v[82:83], v[108:109], v[82:83]
	v_fma_f64 v[108:109], s[38:39], v[238:239], v[126:127]
	v_mul_f64 v[128:129], v[194:195], s[54:55]
	v_add_f64 v[80:81], v[80:81], v[112:113]
	v_fma_f64 v[78:79], v[174:175], s[26:27], -v[78:79]
	v_add_f64 v[82:83], v[108:109], v[82:83]
	v_fma_f64 v[108:109], s[34:35], v[242:243], v[128:129]
	v_mul_f64 v[130:131], v[116:117], s[24:25]
	v_add_f64 v[78:79], v[78:79], v[80:81]
	v_fma_f64 v[76:77], v[206:207], s[4:5], -v[76:77]
	v_add_f64 v[82:83], v[108:109], v[82:83]
	v_fma_f64 v[108:109], v[138:139], s[18:19], -v[130:131]
	v_mul_f64 v[132:133], v[118:119], s[50:51]
	v_add_f64 v[76:77], v[76:77], v[78:79]
	v_fma_f64 v[78:79], v[222:223], s[12:13], -v[114:115]
	v_add_f64 v[108:109], v[16:17], v[108:109]
	v_fma_f64 v[110:111], v[154:155], s[40:41], -v[132:133]
	;; [unrolled: 5-line block ×3, first 2 shown]
	v_mul_f64 v[136:137], v[218:219], s[48:49]
	v_add_f64 v[76:77], v[78:79], v[76:77]
	v_fma_f64 v[78:79], v[242:243], s[34:35], -v[128:129]
	v_fmac_f64_e32 v[130:131], s[18:19], v[138:139]
	v_add_f64 v[108:109], v[110:111], v[108:109]
	v_fma_f64 v[110:111], v[170:171], s[4:5], -v[136:137]
	v_mul_f64 v[252:253], v[226:227], s[22:23]
	v_add_f64 v[76:77], v[78:79], v[76:77]
	v_fmac_f64_e32 v[132:133], s[40:41], v[154:155]
	v_add_f64 v[78:79], v[16:17], v[130:131]
	v_add_f64 v[108:109], v[110:111], v[108:109]
	v_fma_f64 v[110:111], v[168:169], s[12:13], -v[252:253]
	v_mul_f64 v[254:255], v[240:241], s[36:37]
	v_add_f64 v[78:79], v[132:133], v[78:79]
	v_fmac_f64_e32 v[134:135], s[26:27], v[152:153]
	v_add_f64 v[108:109], v[110:111], v[108:109]
	v_fma_f64 v[110:111], v[190:191], s[38:39], -v[254:255]
	v_mul_f64 v[140:141], v[244:245], s[54:55]
	v_add_f64 v[78:79], v[134:135], v[78:79]
	v_fmac_f64_e32 v[136:137], s[4:5], v[170:171]
	;; [unrolled: 5-line block ×3, first 2 shown]
	v_add_f64 v[108:109], v[110:111], v[108:109]
	v_fma_f64 v[110:111], s[10:11], v[246:247], v[144:145]
	v_add_f64 v[78:79], v[252:253], v[78:79]
	v_fmac_f64_e32 v[254:255], s[38:39], v[190:191]
	v_add_f64 v[110:111], v[110:111], v[82:83]
	v_mul_f64 v[82:83], v[248:249], s[52:53]
	v_add_f64 v[78:79], v[254:255], v[78:79]
	v_fmac_f64_e32 v[140:141], s[34:35], v[186:187]
	v_fma_f64 v[80:81], v[246:247], s[10:11], -v[144:145]
	v_fma_f64 v[146:147], v[202:203], s[10:11], -v[82:83]
	v_add_f64 v[78:79], v[140:141], v[78:79]
	v_add_f64 v[114:115], v[80:81], v[76:77]
	v_fmac_f64_e32 v[82:83], s[10:11], v[202:203]
	v_mul_f64 v[76:77], v[142:143], s[22:23]
	v_add_f64 v[112:113], v[82:83], v[78:79]
	v_fma_f64 v[78:79], s[12:13], v[148:149], v[76:77]
	v_mul_f64 v[80:81], v[156:157], s[30:31]
	v_add_f64 v[78:79], v[18:19], v[78:79]
	v_fma_f64 v[82:83], s[34:35], v[162:163], v[80:81]
	v_add_f64 v[78:79], v[82:83], v[78:79]
	v_mul_f64 v[82:83], v[176:177], s[50:51]
	v_mul_f64 v[126:127], v[216:217], s[50:51]
	s_mov_b32 s51, 0x3fc7851a
	v_mul_f64 v[128:129], v[158:159], s[50:51]
	v_fma_f64 v[130:131], s[40:41], v[174:175], v[128:129]
	v_add_f64 v[78:79], v[130:131], v[78:79]
	v_mul_f64 v[130:131], v[176:177], s[46:47]
	v_fma_f64 v[132:133], s[26:27], v[206:207], v[130:131]
	v_add_f64 v[78:79], v[132:133], v[78:79]
	v_mul_f64 v[132:133], v[178:179], s[52:53]
	v_fma_f64 v[134:135], s[10:11], v[222:223], v[132:133]
	v_add_f64 v[78:79], v[134:135], v[78:79]
	v_mul_f64 v[134:135], v[196:197], s[16:17]
	v_fma_f64 v[136:137], s[4:5], v[238:239], v[134:135]
	v_add_f64 v[78:79], v[136:137], v[78:79]
	v_mul_f64 v[136:137], v[194:195], s[24:25]
	v_fma_f64 v[140:141], s[18:19], v[242:243], v[136:137]
	v_mul_f64 v[144:145], v[116:117], s[22:23]
	v_add_f64 v[78:79], v[140:141], v[78:79]
	v_mul_f64 v[140:141], v[118:119], s[30:31]
	v_fma_f64 v[116:117], v[138:139], s[12:13], -v[144:145]
	v_fma_f64 v[76:77], v[148:149], s[12:13], -v[76:77]
	v_add_f64 v[108:109], v[146:147], v[108:109]
	v_add_f64 v[116:117], v[16:17], v[116:117]
	v_fma_f64 v[118:119], v[154:155], s[34:35], -v[140:141]
	v_mul_f64 v[146:147], v[182:183], s[50:51]
	v_fma_f64 v[80:81], v[162:163], s[34:35], -v[80:81]
	v_add_f64 v[76:77], v[18:19], v[76:77]
	v_add_f64 v[116:117], v[118:119], v[116:117]
	v_fma_f64 v[118:119], v[152:153], s[40:41], -v[146:147]
	v_mul_f64 v[182:183], v[218:219], s[46:47]
	v_fma_f64 v[128:129], v[174:175], s[40:41], -v[128:129]
	v_add_f64 v[76:77], v[80:81], v[76:77]
	v_fmac_f64_e32 v[144:145], s[12:13], v[138:139]
	v_add_f64 v[116:117], v[118:119], v[116:117]
	v_fma_f64 v[118:119], v[170:171], s[26:27], -v[182:183]
	v_mul_f64 v[218:219], v[226:227], s[52:53]
	v_fma_f64 v[130:131], v[206:207], s[26:27], -v[130:131]
	v_add_f64 v[76:77], v[128:129], v[76:77]
	v_fmac_f64_e32 v[140:141], s[34:35], v[154:155]
	v_add_f64 v[144:145], v[16:17], v[144:145]
	v_add_f64 v[116:117], v[118:119], v[116:117]
	v_fma_f64 v[118:119], v[168:169], s[10:11], -v[218:219]
	v_mul_f64 v[226:227], v[240:241], s[16:17]
	v_fma_f64 v[132:133], v[222:223], s[10:11], -v[132:133]
	v_add_f64 v[76:77], v[130:131], v[76:77]
	v_add_f64 v[140:141], v[140:141], v[144:145]
	v_fmac_f64_e32 v[146:147], s[40:41], v[152:153]
	v_add_f64 v[116:117], v[118:119], v[116:117]
	v_fma_f64 v[118:119], v[190:191], s[4:5], -v[226:227]
	v_mul_f64 v[240:241], v[244:245], s[24:25]
	v_fma_f64 v[134:135], v[238:239], s[4:5], -v[134:135]
	v_add_f64 v[76:77], v[132:133], v[76:77]
	v_mul_f64 v[132:133], v[142:143], s[14:15]
	v_add_f64 v[140:141], v[146:147], v[140:141]
	v_fmac_f64_e32 v[182:183], s[26:27], v[170:171]
	v_add_f64 v[116:117], v[118:119], v[116:117]
	v_fma_f64 v[118:119], v[186:187], s[18:19], -v[240:241]
	v_mul_f64 v[244:245], v[216:217], s[36:37]
	v_fma_f64 v[136:137], v[242:243], s[18:19], -v[136:137]
	v_mul_f64 v[128:129], v[142:143], s[16:17]
	v_add_f64 v[76:77], v[134:135], v[76:77]
	v_mul_f64 v[130:131], v[138:139], s[10:11]
	v_mul_f64 v[142:143], v[156:157], s[24:25]
	v_add_f64 v[140:141], v[182:183], v[140:141]
	v_fmac_f64_e32 v[218:219], s[10:11], v[168:169]
	v_add_f64 v[132:133], v[204:205], -v[132:133]
	v_add_f64 v[116:117], v[118:119], v[116:117]
	v_fma_f64 v[118:119], s[38:39], v[246:247], v[244:245]
	v_mul_f64 v[80:81], v[138:139], s[4:5]
	v_add_f64 v[76:77], v[136:137], v[76:77]
	v_mul_f64 v[136:137], v[156:157], s[14:15]
	v_mul_f64 v[138:139], v[154:155], s[18:19]
	;; [unrolled: 1-line block ×3, first 2 shown]
	v_add_f64 v[140:141], v[218:219], v[140:141]
	v_fmac_f64_e32 v[226:227], s[4:5], v[190:191]
	v_add_f64 v[142:143], v[208:209], -v[142:143]
	v_add_f64 v[132:133], v[18:19], v[132:133]
	v_add_f64 v[130:131], v[130:131], v[188:189]
	;; [unrolled: 1-line block ×3, first 2 shown]
	v_mul_f64 v[78:79], v[248:249], s[36:37]
	v_add_f64 v[140:141], v[226:227], v[140:141]
	v_fmac_f64_e32 v[240:241], s[18:19], v[186:187]
	v_add_f64 v[156:157], v[212:213], -v[156:157]
	v_add_f64 v[132:133], v[142:143], v[132:133]
	v_add_f64 v[138:139], v[138:139], v[192:193]
	;; [unrolled: 1-line block ×3, first 2 shown]
	v_fma_f64 v[248:249], v[202:203], s[38:39], -v[78:79]
	v_mul_f64 v[146:147], v[158:159], s[22:23]
	v_mul_f64 v[148:149], v[152:153], s[34:35]
	;; [unrolled: 1-line block ×3, first 2 shown]
	v_add_f64 v[140:141], v[240:241], v[140:141]
	v_fmac_f64_e32 v[78:79], s[38:39], v[202:203]
	v_add_f64 v[82:83], v[220:221], -v[82:83]
	v_add_f64 v[132:133], v[156:157], v[132:133]
	v_add_f64 v[130:131], v[138:139], v[130:131]
	v_accvgpr_read_b32 v139, a23
	v_mul_f64 v[144:145], v[152:153], s[12:13]
	v_mul_f64 v[162:163], v[170:171], s[18:19]
	;; [unrolled: 1-line block ×3, first 2 shown]
	v_add_f64 v[152:153], v[78:79], v[140:141]
	v_mul_f64 v[140:141], v[196:197], s[46:47]
	v_add_f64 v[158:159], v[228:229], -v[158:159]
	v_add_f64 v[82:83], v[82:83], v[132:133]
	v_add_f64 v[148:149], v[148:149], v[198:199]
	v_accvgpr_read_b32 v138, a22
	v_add_f64 v[12:13], v[16:17], v[12:13]
	v_mul_f64 v[174:175], v[176:177], s[24:25]
	v_mul_f64 v[176:177], v[168:169], s[26:27]
	;; [unrolled: 1-line block ×3, first 2 shown]
	v_add_f64 v[140:141], v[232:233], -v[140:141]
	v_add_f64 v[82:83], v[158:159], v[82:83]
	v_add_f64 v[142:143], v[170:171], v[200:201]
	;; [unrolled: 1-line block ×3, first 2 shown]
	v_add_f64 v[136:137], v[138:139], -v[136:137]
	v_accvgpr_read_b32 v139, a21
	v_add_f64 v[14:15], v[18:19], v[14:15]
	v_add_f64 v[12:13], v[12:13], v[20:21]
	v_mul_f64 v[78:79], v[190:191], s[26:27]
	v_add_f64 v[82:83], v[140:141], v[82:83]
	v_add_f64 v[140:141], v[168:169], v[210:211]
	v_add_f64 v[130:131], v[142:143], v[130:131]
	v_accvgpr_read_b32 v138, a20
	v_add_f64 v[14:15], v[14:15], v[22:23]
	v_add_f64 v[12:13], v[12:13], v[24:25]
	v_mul_f64 v[182:183], v[178:179], s[28:29]
	v_mul_f64 v[178:179], v[190:191], s[34:35]
	;; [unrolled: 1-line block ×4, first 2 shown]
	v_add_f64 v[78:79], v[78:79], v[214:215]
	v_add_f64 v[130:131], v[140:141], v[130:131]
	v_add_f64 v[128:129], v[138:139], -v[128:129]
	v_add_f64 v[14:15], v[14:15], v[26:27]
	v_add_f64 v[12:13], v[12:13], v[40:41]
	;; [unrolled: 1-line block ×7, first 2 shown]
	v_fma_f64 v[244:245], v[246:247], s[38:39], -v[244:245]
	v_mul_f64 v[206:207], v[194:195], s[36:37]
	v_mul_f64 v[194:195], v[194:195], s[44:45]
	v_add_f64 v[78:79], v[132:133], v[78:79]
	v_accvgpr_read_b32 v133, a25
	v_add_f64 v[128:129], v[136:137], v[128:129]
	v_accvgpr_read_b32 v137, a13
	v_add_f64 v[14:15], v[14:15], v[46:47]
	v_add_f64 v[12:13], v[12:13], v[56:57]
	v_mul_f64 v[134:135], v[154:155], s[10:11]
	v_add_f64 v[154:155], v[244:245], v[76:77]
	v_mul_f64 v[76:77], v[196:197], s[30:31]
	v_mul_f64 v[196:197], v[216:217], s[48:49]
	v_add_f64 v[194:195], v[234:235], -v[194:195]
	v_accvgpr_read_b32 v131, a27
	v_accvgpr_read_b32 v132, a24
	;; [unrolled: 1-line block ×3, first 2 shown]
	v_add_f64 v[14:15], v[14:15], v[58:59]
	v_add_f64 v[12:13], v[12:13], v[60:61]
	v_add_f64 v[196:197], v[236:237], -v[196:197]
	v_mul_f64 v[216:217], v[202:203], s[40:41]
	v_mul_f64 v[202:203], v[202:203], s[4:5]
	v_add_f64 v[82:83], v[194:195], v[82:83]
	v_accvgpr_read_b32 v130, a26
	v_add_f64 v[132:133], v[132:133], -v[146:147]
	v_add_f64 v[134:135], v[134:135], v[136:137]
	v_accvgpr_read_b32 v137, a11
	v_add_f64 v[14:15], v[14:15], v[62:63]
	v_add_f64 v[12:13], v[12:13], v[68:69]
	;; [unrolled: 1-line block ×4, first 2 shown]
	v_add_f64 v[130:131], v[130:131], -v[174:175]
	v_add_f64 v[128:129], v[132:133], v[128:129]
	v_accvgpr_read_b32 v136, a10
	v_add_f64 v[14:15], v[14:15], v[70:71]
	v_add_f64 v[12:13], v[12:13], v[72:73]
	;; [unrolled: 1-line block ×3, first 2 shown]
	v_add_f64 v[78:79], v[184:185], -v[126:127]
	v_add_f64 v[126:127], v[150:151], -v[182:183]
	v_add_f64 v[128:129], v[130:131], v[128:129]
	v_accvgpr_read_b32 v133, a15
	v_add_f64 v[80:81], v[80:81], v[136:137]
	v_add_f64 v[14:15], v[14:15], v[74:75]
	;; [unrolled: 1-line block ×3, first 2 shown]
	v_add_f64 v[76:77], v[166:167], -v[76:77]
	v_add_f64 v[126:127], v[126:127], v[128:129]
	v_accvgpr_read_b32 v131, a17
	v_accvgpr_read_b32 v132, a14
	v_add_f64 v[80:81], v[16:17], v[80:81]
	v_add_f64 v[14:15], v[14:15], v[66:67]
	;; [unrolled: 1-line block ×4, first 2 shown]
	v_accvgpr_read_b32 v127, a19
	v_accvgpr_read_b32 v130, a16
	v_add_f64 v[132:133], v[144:145], v[132:133]
	v_add_f64 v[80:81], v[134:135], v[80:81]
	;; [unrolled: 1-line block ×4, first 2 shown]
	v_accvgpr_read_b32 v126, a18
	v_add_f64 v[130:131], v[162:163], v[130:131]
	v_add_f64 v[80:81], v[132:133], v[80:81]
	;; [unrolled: 1-line block ×4, first 2 shown]
	v_add_f64 v[82:83], v[172:173], -v[206:207]
	v_add_f64 v[126:127], v[176:177], v[126:127]
	v_add_f64 v[80:81], v[130:131], v[80:81]
	;; [unrolled: 1-line block ×14, first 2 shown]
	v_mul_u32_u24_e32 v12, 0x110, v124
	v_accvgpr_read_b32 v252, a0
	v_add_f64 v[76:77], v[216:217], v[180:181]
	v_add_f64 v[78:79], v[78:79], v[80:81]
	;; [unrolled: 1-line block ×3, first 2 shown]
	v_add3_u32 v12, 0, v12, v250
	v_add_f64 v[116:117], v[248:249], v[116:117]
	v_add_f64 v[126:127], v[76:77], v[78:79]
	ds_write_b128 v12, v[8:11]
	ds_write_b128 v12, v[126:129] offset:16
	ds_write_b128 v12, v[156:159] offset:32
	;; [unrolled: 1-line block ×16, first 2 shown]
.LBB0_20:
	s_or_b64 exec, exec, s[20:21]
	s_waitcnt lgkmcnt(0)
	s_barrier
	ds_read_b128 v[28:31], v251
	ds_read_b128 v[24:27], v125 offset:1360
	ds_read_b128 v[60:63], v125 offset:8704
	;; [unrolled: 1-line block ×14, first 2 shown]
	v_cmp_gt_u32_e32 vcc, 17, v124
                                        ; implicit-def: $vgpr18_vgpr19
                                        ; implicit-def: $vgpr14_vgpr15
                                        ; implicit-def: $vgpr10_vgpr11
	s_and_saveexec_b64 s[4:5], vcc
	s_cbranch_execz .LBB0_22
; %bb.21:
	ds_read_b128 v[4:7], v125 offset:4080
	ds_read_b128 v[0:3], v125 offset:8432
	;; [unrolled: 1-line block ×5, first 2 shown]
.LBB0_22:
	s_or_b64 exec, exec, s[4:5]
	s_movk_i32 s4, 0xf1
	v_mul_lo_u16_sdwa v80, v124, s4 dst_sel:DWORD dst_unused:UNUSED_PAD src0_sel:BYTE_0 src1_sel:DWORD
	v_lshrrev_b16_e32 v88, 12, v80
	v_mul_lo_u16_e32 v80, 17, v88
	v_sub_u16_e32 v89, v124, v80
	v_mov_b32_e32 v80, 6
	v_lshlrev_b32_sdwa v81, v80, v89 dst_sel:DWORD dst_unused:UNUSED_PAD src0_sel:DWORD src1_sel:BYTE_0
	global_load_dwordx4 v[92:95], v81, s[8:9] offset:48
	global_load_dwordx4 v[96:99], v81, s[8:9] offset:32
	;; [unrolled: 1-line block ×3, first 2 shown]
	global_load_dwordx4 v[104:107], v81, s[8:9]
	v_add_u16_e32 v81, 0x55, v124
	v_mul_lo_u16_sdwa v82, v81, s4 dst_sel:DWORD dst_unused:UNUSED_PAD src0_sel:BYTE_0 src1_sel:DWORD
	v_lshrrev_b16_e32 v90, 12, v82
	v_mul_lo_u16_e32 v82, 17, v90
	v_sub_u16_e32 v91, v81, v82
	v_lshlrev_b32_sdwa v81, v80, v91 dst_sel:DWORD dst_unused:UNUSED_PAD src0_sel:DWORD src1_sel:BYTE_0
	global_load_dwordx4 v[108:111], v81, s[8:9] offset:16
	global_load_dwordx4 v[112:115], v81, s[8:9]
	global_load_dwordx4 v[116:119], v81, s[8:9] offset:48
	global_load_dwordx4 v[126:129], v81, s[8:9] offset:32
	v_add_u16_e32 v81, 0xaa, v124
	v_mul_lo_u16_sdwa v82, v81, s4 dst_sel:DWORD dst_unused:UNUSED_PAD src0_sel:BYTE_0 src1_sel:DWORD
	v_lshrrev_b16_e32 v162, 12, v82
	v_mul_lo_u16_e32 v82, 17, v162
	v_sub_u16_e32 v163, v81, v82
	v_lshlrev_b32_sdwa v80, v80, v163 dst_sel:DWORD dst_unused:UNUSED_PAD src0_sel:DWORD src1_sel:BYTE_0
	global_load_dwordx4 v[130:133], v80, s[8:9]
	global_load_dwordx4 v[134:137], v80, s[8:9] offset:16
	global_load_dwordx4 v[138:141], v80, s[8:9] offset:32
	;; [unrolled: 1-line block ×3, first 2 shown]
	s_mov_b32 s10, 0x134454ff
	s_mov_b32 s11, 0xbfee6f0e
	;; [unrolled: 1-line block ×10, first 2 shown]
	s_movk_i32 s18, 0x550
	s_waitcnt lgkmcnt(0)
	s_barrier
	s_waitcnt vmcnt(11)
	v_mul_f64 v[152:153], v[58:59], v[94:95]
	s_waitcnt vmcnt(10)
	v_mul_f64 v[150:151], v[78:79], v[98:99]
	;; [unrolled: 2-line block ×4, first 2 shown]
	v_fmac_f64_e32 v[146:147], v[72:73], v[104:105]
	v_mul_f64 v[106:107], v[72:73], v[106:107]
	v_mul_f64 v[94:95], v[56:57], v[94:95]
	s_waitcnt vmcnt(7)
	v_mul_f64 v[156:157], v[38:39], v[110:111]
	v_fmac_f64_e32 v[148:149], v[60:61], v[100:101]
	s_waitcnt vmcnt(5)
	v_mul_f64 v[160:161], v[34:35], v[118:119]
	v_mul_f64 v[118:119], v[32:33], v[118:119]
	v_fmac_f64_e32 v[150:151], v[76:77], v[96:97]
	v_fmac_f64_e32 v[160:161], v[32:33], v[116:117]
	v_add_f64 v[32:33], v[28:29], v[146:147]
	v_mul_f64 v[102:103], v[60:61], v[102:103]
	v_mul_f64 v[98:99], v[76:77], v[98:99]
	;; [unrolled: 1-line block ×3, first 2 shown]
	v_fma_f64 v[72:73], v[74:75], v[104:105], -v[106:107]
	v_fmac_f64_e32 v[152:153], v[56:57], v[92:93]
	v_fma_f64 v[58:59], v[58:59], v[92:93], -v[94:95]
	v_fmac_f64_e32 v[156:157], v[36:37], v[108:109]
	v_fma_f64 v[92:93], v[34:35], v[116:117], -v[118:119]
	v_add_f64 v[34:35], v[148:149], v[150:151]
	v_add_f64 v[36:37], v[32:33], v[148:149]
	s_waitcnt vmcnt(3)
	v_mul_f64 v[80:81], v[46:47], v[132:133]
	s_waitcnt vmcnt(1)
	v_mul_f64 v[84:85], v[54:55], v[140:141]
	;; [unrolled: 2-line block ×3, first 2 shown]
	v_mul_f64 v[144:145], v[40:41], v[144:145]
	v_fma_f64 v[60:61], v[62:63], v[100:101], -v[102:103]
	v_fma_f64 v[62:63], v[78:79], v[96:97], -v[98:99]
	;; [unrolled: 1-line block ×3, first 2 shown]
	v_add_f64 v[38:39], v[72:73], -v[58:59]
	v_fma_f64 v[32:33], -0.5, v[34:35], v[28:29]
	v_add_f64 v[34:35], v[36:37], v[150:151]
	v_mul_f64 v[132:133], v[44:45], v[132:133]
	v_mul_f64 v[140:141], v[52:53], v[140:141]
	v_fmac_f64_e32 v[80:81], v[44:45], v[130:131]
	v_fmac_f64_e32 v[84:85], v[52:53], v[138:139]
	;; [unrolled: 1-line block ×3, first 2 shown]
	v_fma_f64 v[52:53], v[42:43], v[142:143], -v[144:145]
	v_add_f64 v[42:43], v[60:61], -v[62:63]
	v_fma_f64 v[36:37], s[10:11], v[38:39], v[32:33]
	v_add_f64 v[40:41], v[34:35], v[152:153]
	v_add_f64 v[34:35], v[146:147], -v[148:149]
	v_add_f64 v[44:45], v[152:153], -v[150:151]
	v_fmac_f64_e32 v[32:33], s[16:17], v[38:39]
	v_fmac_f64_e32 v[36:37], s[4:5], v[42:43]
	v_add_f64 v[34:35], v[34:35], v[44:45]
	v_fmac_f64_e32 v[32:33], s[14:15], v[42:43]
	v_fmac_f64_e32 v[36:37], s[12:13], v[34:35]
	;; [unrolled: 1-line block ×3, first 2 shown]
	v_add_f64 v[34:35], v[146:147], v[152:153]
	v_fmac_f64_e32 v[28:29], -0.5, v[34:35]
	v_fma_f64 v[56:57], v[46:47], v[130:131], -v[132:133]
	v_fma_f64 v[44:45], s[16:17], v[42:43], v[28:29]
	v_add_f64 v[34:35], v[148:149], -v[146:147]
	v_add_f64 v[46:47], v[150:151], -v[152:153]
	v_fmac_f64_e32 v[28:29], s[10:11], v[42:43]
	v_fmac_f64_e32 v[44:45], s[4:5], v[38:39]
	v_add_f64 v[34:35], v[34:35], v[46:47]
	v_fmac_f64_e32 v[28:29], s[14:15], v[38:39]
	v_fmac_f64_e32 v[44:45], s[12:13], v[34:35]
	v_fmac_f64_e32 v[28:29], s[12:13], v[34:35]
	v_add_f64 v[34:35], v[30:31], v[72:73]
	v_add_f64 v[34:35], v[34:35], v[60:61]
	;; [unrolled: 1-line block ×3, first 2 shown]
	v_mul_f64 v[82:83], v[50:51], v[136:137]
	v_mul_f64 v[136:137], v[48:49], v[136:137]
	v_add_f64 v[42:43], v[34:35], v[58:59]
	v_add_f64 v[34:35], v[60:61], v[62:63]
	v_mul_f64 v[154:155], v[66:67], v[114:115]
	v_mul_f64 v[114:115], v[64:65], v[114:115]
	v_fmac_f64_e32 v[82:83], v[48:49], v[134:135]
	v_fma_f64 v[48:49], v[50:51], v[134:135], -v[136:137]
	v_fma_f64 v[50:51], v[54:55], v[138:139], -v[140:141]
	v_fma_f64 v[34:35], -0.5, v[34:35], v[30:31]
	v_add_f64 v[54:55], v[146:147], -v[152:153]
	v_fmac_f64_e32 v[154:155], v[64:65], v[112:113]
	v_fma_f64 v[74:75], v[66:67], v[112:113], -v[114:115]
	v_fma_f64 v[38:39], s[16:17], v[54:55], v[34:35]
	v_add_f64 v[64:65], v[148:149], -v[150:151]
	v_add_f64 v[46:47], v[72:73], -v[60:61]
	;; [unrolled: 1-line block ×3, first 2 shown]
	v_fmac_f64_e32 v[34:35], s[10:11], v[54:55]
	v_fmac_f64_e32 v[38:39], s[14:15], v[64:65]
	v_add_f64 v[46:47], v[46:47], v[66:67]
	v_fmac_f64_e32 v[34:35], s[4:5], v[64:65]
	v_fmac_f64_e32 v[38:39], s[12:13], v[46:47]
	;; [unrolled: 1-line block ×3, first 2 shown]
	v_add_f64 v[46:47], v[72:73], v[58:59]
	v_fmac_f64_e32 v[30:31], -0.5, v[46:47]
	v_fma_f64 v[46:47], s[10:11], v[64:65], v[30:31]
	v_fmac_f64_e32 v[30:31], s[16:17], v[64:65]
	v_mul_f64 v[158:159], v[70:71], v[128:129]
	v_fmac_f64_e32 v[46:47], s[14:15], v[54:55]
	v_fmac_f64_e32 v[30:31], s[4:5], v[54:55]
	v_add_f64 v[54:55], v[24:25], v[154:155]
	v_fmac_f64_e32 v[158:159], v[68:69], v[126:127]
	v_add_f64 v[60:61], v[60:61], -v[72:73]
	v_add_f64 v[58:59], v[62:63], -v[58:59]
	v_add_f64 v[54:55], v[54:55], v[156:157]
	v_add_f64 v[58:59], v[60:61], v[58:59]
	;; [unrolled: 1-line block ×3, first 2 shown]
	v_mul_f64 v[128:129], v[68:69], v[128:129]
	v_fmac_f64_e32 v[46:47], s[12:13], v[58:59]
	v_fmac_f64_e32 v[30:31], s[12:13], v[58:59]
	v_add_f64 v[58:59], v[54:55], v[160:161]
	v_add_f64 v[54:55], v[156:157], v[158:159]
	v_fma_f64 v[78:79], v[70:71], v[126:127], -v[128:129]
	v_fma_f64 v[62:63], -0.5, v[54:55], v[24:25]
	v_add_f64 v[54:55], v[74:75], -v[92:93]
	v_fma_f64 v[66:67], s[10:11], v[54:55], v[62:63]
	v_add_f64 v[60:61], v[76:77], -v[78:79]
	v_add_f64 v[64:65], v[154:155], -v[156:157]
	;; [unrolled: 1-line block ×3, first 2 shown]
	v_fmac_f64_e32 v[62:63], s[16:17], v[54:55]
	v_fmac_f64_e32 v[66:67], s[4:5], v[60:61]
	v_add_f64 v[64:65], v[64:65], v[68:69]
	v_fmac_f64_e32 v[62:63], s[14:15], v[60:61]
	v_fmac_f64_e32 v[66:67], s[12:13], v[64:65]
	;; [unrolled: 1-line block ×3, first 2 shown]
	v_add_f64 v[64:65], v[154:155], v[160:161]
	v_fmac_f64_e32 v[24:25], -0.5, v[64:65]
	v_fma_f64 v[70:71], s[16:17], v[60:61], v[24:25]
	v_fmac_f64_e32 v[24:25], s[10:11], v[60:61]
	v_fmac_f64_e32 v[70:71], s[4:5], v[54:55]
	;; [unrolled: 1-line block ×3, first 2 shown]
	v_add_f64 v[54:55], v[26:27], v[74:75]
	v_add_f64 v[54:55], v[54:55], v[76:77]
	v_add_f64 v[64:65], v[156:157], -v[154:155]
	v_add_f64 v[68:69], v[158:159], -v[160:161]
	v_add_f64 v[54:55], v[54:55], v[78:79]
	v_add_f64 v[64:65], v[64:65], v[68:69]
	;; [unrolled: 1-line block ×4, first 2 shown]
	v_fmac_f64_e32 v[70:71], s[12:13], v[64:65]
	v_fmac_f64_e32 v[24:25], s[12:13], v[64:65]
	v_fma_f64 v[64:65], -0.5, v[54:55], v[26:27]
	v_add_f64 v[54:55], v[154:155], -v[160:161]
	v_fma_f64 v[68:69], s[16:17], v[54:55], v[64:65]
	v_add_f64 v[94:95], v[156:157], -v[158:159]
	v_add_f64 v[72:73], v[74:75], -v[76:77]
	;; [unrolled: 1-line block ×3, first 2 shown]
	v_fmac_f64_e32 v[64:65], s[10:11], v[54:55]
	v_fmac_f64_e32 v[68:69], s[14:15], v[94:95]
	v_add_f64 v[72:73], v[72:73], v[96:97]
	v_fmac_f64_e32 v[64:65], s[4:5], v[94:95]
	v_fmac_f64_e32 v[68:69], s[12:13], v[72:73]
	;; [unrolled: 1-line block ×3, first 2 shown]
	v_add_f64 v[72:73], v[74:75], v[92:93]
	v_fmac_f64_e32 v[26:27], -0.5, v[72:73]
	v_fma_f64 v[72:73], s[10:11], v[94:95], v[26:27]
	v_fmac_f64_e32 v[26:27], s[16:17], v[94:95]
	v_fmac_f64_e32 v[72:73], s[14:15], v[54:55]
	;; [unrolled: 1-line block ×3, first 2 shown]
	v_add_f64 v[54:55], v[20:21], v[80:81]
	v_add_f64 v[74:75], v[76:77], -v[74:75]
	v_add_f64 v[76:77], v[78:79], -v[92:93]
	v_add_f64 v[54:55], v[54:55], v[82:83]
	v_add_f64 v[74:75], v[74:75], v[76:77]
	v_add_f64 v[54:55], v[54:55], v[84:85]
	v_fmac_f64_e32 v[72:73], s[12:13], v[74:75]
	v_fmac_f64_e32 v[26:27], s[12:13], v[74:75]
	v_add_f64 v[74:75], v[54:55], v[86:87]
	v_add_f64 v[54:55], v[82:83], v[84:85]
	v_fma_f64 v[92:93], -0.5, v[54:55], v[20:21]
	v_add_f64 v[54:55], v[56:57], -v[52:53]
	v_fma_f64 v[78:79], s[10:11], v[54:55], v[92:93]
	v_add_f64 v[76:77], v[48:49], -v[50:51]
	v_add_f64 v[94:95], v[80:81], -v[82:83]
	;; [unrolled: 1-line block ×3, first 2 shown]
	v_fmac_f64_e32 v[92:93], s[16:17], v[54:55]
	v_fmac_f64_e32 v[78:79], s[4:5], v[76:77]
	v_add_f64 v[94:95], v[94:95], v[96:97]
	v_fmac_f64_e32 v[92:93], s[14:15], v[76:77]
	v_fmac_f64_e32 v[78:79], s[12:13], v[94:95]
	v_fmac_f64_e32 v[92:93], s[12:13], v[94:95]
	v_add_f64 v[94:95], v[80:81], v[86:87]
	v_fmac_f64_e32 v[20:21], -0.5, v[94:95]
	v_fma_f64 v[96:97], s[16:17], v[76:77], v[20:21]
	v_fmac_f64_e32 v[20:21], s[10:11], v[76:77]
	v_fmac_f64_e32 v[96:97], s[4:5], v[54:55]
	;; [unrolled: 1-line block ×3, first 2 shown]
	v_add_f64 v[54:55], v[22:23], v[56:57]
	v_add_f64 v[54:55], v[54:55], v[48:49]
	v_add_f64 v[94:95], v[82:83], -v[80:81]
	v_add_f64 v[98:99], v[84:85], -v[86:87]
	v_add_f64 v[54:55], v[54:55], v[50:51]
	v_add_f64 v[94:95], v[94:95], v[98:99]
	;; [unrolled: 1-line block ×4, first 2 shown]
	v_fmac_f64_e32 v[96:97], s[12:13], v[94:95]
	v_fmac_f64_e32 v[20:21], s[12:13], v[94:95]
	v_fma_f64 v[94:95], -0.5, v[54:55], v[22:23]
	v_add_f64 v[54:55], v[80:81], -v[86:87]
	v_fma_f64 v[80:81], s[16:17], v[54:55], v[94:95]
	v_add_f64 v[82:83], v[82:83], -v[84:85]
	v_add_f64 v[84:85], v[56:57], -v[48:49]
	;; [unrolled: 1-line block ×3, first 2 shown]
	v_fmac_f64_e32 v[94:95], s[10:11], v[54:55]
	v_fmac_f64_e32 v[80:81], s[14:15], v[82:83]
	v_add_f64 v[84:85], v[84:85], v[86:87]
	v_fmac_f64_e32 v[94:95], s[4:5], v[82:83]
	v_fmac_f64_e32 v[80:81], s[12:13], v[84:85]
	;; [unrolled: 1-line block ×3, first 2 shown]
	v_add_f64 v[84:85], v[56:57], v[52:53]
	v_fmac_f64_e32 v[22:23], -0.5, v[84:85]
	v_fma_f64 v[98:99], s[10:11], v[82:83], v[22:23]
	v_add_f64 v[48:49], v[48:49], -v[56:57]
	v_add_f64 v[50:51], v[50:51], -v[52:53]
	v_fmac_f64_e32 v[22:23], s[16:17], v[82:83]
	v_fmac_f64_e32 v[98:99], s[14:15], v[54:55]
	v_add_f64 v[48:49], v[48:49], v[50:51]
	v_fmac_f64_e32 v[22:23], s[4:5], v[54:55]
	v_fmac_f64_e32 v[98:99], s[12:13], v[48:49]
	v_fmac_f64_e32 v[22:23], s[12:13], v[48:49]
	v_mov_b32_e32 v49, 4
	v_mad_u32_u24 v48, v88, s18, 0
	v_lshlrev_b32_sdwa v50, v49, v89 dst_sel:DWORD dst_unused:UNUSED_PAD src0_sel:DWORD src1_sel:BYTE_0
	v_add3_u32 v48, v48, v50, v250
	ds_write_b128 v48, v[40:43]
	ds_write_b128 v48, v[36:39] offset:272
	ds_write_b128 v48, v[44:47] offset:544
	ds_write_b128 v48, v[28:31] offset:816
	ds_write_b128 v48, v[32:35] offset:1088
	v_mad_u32_u24 v28, v90, s18, 0
	v_lshlrev_b32_sdwa v29, v49, v91 dst_sel:DWORD dst_unused:UNUSED_PAD src0_sel:DWORD src1_sel:BYTE_0
	v_add3_u32 v28, v28, v29, v250
	ds_write_b128 v28, v[58:61]
	ds_write_b128 v28, v[66:69] offset:272
	ds_write_b128 v28, v[70:73] offset:544
	ds_write_b128 v28, v[24:27] offset:816
	ds_write_b128 v28, v[62:65] offset:1088
	v_mad_u32_u24 v24, v162, s18, 0
	v_lshlrev_b32_sdwa v25, v49, v163 dst_sel:DWORD dst_unused:UNUSED_PAD src0_sel:DWORD src1_sel:BYTE_0
	v_add3_u32 v24, v24, v25, v250
	ds_write_b128 v24, v[74:77]
	ds_write_b128 v24, v[78:81] offset:272
	ds_write_b128 v24, v[96:99] offset:544
	ds_write_b128 v24, v[20:23] offset:816
	ds_write_b128 v24, v[92:95] offset:1088
	s_and_saveexec_b64 s[18:19], vcc
	s_cbranch_execz .LBB0_24
; %bb.23:
	v_add_u32_e32 v20, 0xff, v124
	s_mov_b32 s20, 0xf0f1
	v_mul_u32_u24_sdwa v21, v20, s20 dst_sel:DWORD dst_unused:UNUSED_PAD src0_sel:WORD_0 src1_sel:DWORD
	v_lshrrev_b32_e32 v21, 20, v21
	v_mul_lo_u16_e32 v21, 17, v21
	v_sub_u16_e32 v36, v20, v21
	v_lshlrev_b32_e32 v37, 6, v36
	global_load_dwordx4 v[20:23], v37, s[8:9] offset:16
	global_load_dwordx4 v[24:27], v37, s[8:9]
	global_load_dwordx4 v[28:31], v37, s[8:9] offset:32
	global_load_dwordx4 v[32:35], v37, s[8:9] offset:48
	v_lshlrev_b32_e32 v36, 4, v36
	v_add3_u32 v56, 0, v36, v250
	s_waitcnt vmcnt(3)
	v_mul_f64 v[36:37], v[8:9], v[22:23]
	s_waitcnt vmcnt(2)
	v_mul_f64 v[38:39], v[0:1], v[26:27]
	;; [unrolled: 2-line block ×4, first 2 shown]
	v_mul_f64 v[22:23], v[10:11], v[22:23]
	v_mul_f64 v[30:31], v[14:15], v[30:31]
	;; [unrolled: 1-line block ×4, first 2 shown]
	v_fma_f64 v[10:11], v[10:11], v[20:21], -v[36:37]
	v_fma_f64 v[2:3], v[2:3], v[24:25], -v[38:39]
	;; [unrolled: 1-line block ×4, first 2 shown]
	v_fmac_f64_e32 v[22:23], v[8:9], v[20:21]
	v_fmac_f64_e32 v[30:31], v[12:13], v[28:29]
	;; [unrolled: 1-line block ×4, first 2 shown]
	v_add_f64 v[0:1], v[10:11], -v[2:3]
	v_add_f64 v[8:9], v[36:37], -v[18:19]
	v_add_f64 v[12:13], v[2:3], v[18:19]
	v_add_f64 v[20:21], v[26:27], -v[34:35]
	v_add_f64 v[28:29], v[10:11], v[36:37]
	v_add_f64 v[32:33], v[6:7], v[2:3]
	v_add_f64 v[38:39], v[22:23], -v[26:27]
	v_add_f64 v[44:45], v[26:27], v[34:35]
	v_add_f64 v[48:49], v[26:27], -v[22:23]
	v_add_f64 v[52:53], v[22:23], v[30:31]
	v_add_f64 v[26:27], v[4:5], v[26:27]
	v_add_f64 v[16:17], v[22:23], -v[30:31]
	v_add_f64 v[14:15], v[2:3], -v[10:11]
	;; [unrolled: 1-line block ×5, first 2 shown]
	v_add_f64 v[54:55], v[0:1], v[8:9]
	v_fma_f64 v[2:3], -0.5, v[12:13], v[6:7]
	v_fma_f64 v[6:7], -0.5, v[28:29], v[6:7]
	v_add_f64 v[8:9], v[32:33], v[10:11]
	v_fma_f64 v[0:1], -0.5, v[44:45], v[4:5]
	v_fma_f64 v[4:5], -0.5, v[52:53], v[4:5]
	v_add_f64 v[22:23], v[26:27], v[22:23]
	v_add_f64 v[40:41], v[30:31], -v[34:35]
	v_add_f64 v[50:51], v[34:35], -v[30:31]
	v_add_f64 v[24:25], v[14:15], v[24:25]
	v_fma_f64 v[10:11], s[16:17], v[16:17], v[2:3]
	v_fmac_f64_e32 v[2:3], s[10:11], v[16:17]
	v_fma_f64 v[14:15], s[10:11], v[20:21], v[6:7]
	v_fmac_f64_e32 v[6:7], s[16:17], v[20:21]
	v_add_f64 v[26:27], v[8:9], v[36:37]
	v_fma_f64 v[8:9], s[10:11], v[46:47], v[0:1]
	v_fmac_f64_e32 v[0:1], s[16:17], v[46:47]
	v_fma_f64 v[12:13], s[16:17], v[42:43], v[4:5]
	v_fmac_f64_e32 v[4:5], s[10:11], v[42:43]
	v_add_f64 v[22:23], v[22:23], v[30:31]
	v_add_f64 v[28:29], v[38:39], v[40:41]
	;; [unrolled: 1-line block ×3, first 2 shown]
	v_fmac_f64_e32 v[10:11], s[4:5], v[20:21]
	v_fmac_f64_e32 v[2:3], s[14:15], v[20:21]
	;; [unrolled: 1-line block ×4, first 2 shown]
	v_add_f64 v[18:19], v[26:27], v[18:19]
	v_fmac_f64_e32 v[8:9], s[14:15], v[42:43]
	v_fmac_f64_e32 v[0:1], s[4:5], v[42:43]
	;; [unrolled: 1-line block ×4, first 2 shown]
	v_add_f64 v[16:17], v[22:23], v[34:35]
	v_fmac_f64_e32 v[10:11], s[12:13], v[54:55]
	v_fmac_f64_e32 v[2:3], s[12:13], v[54:55]
	;; [unrolled: 1-line block ×8, first 2 shown]
	ds_write_b128 v56, v[16:19] offset:20400
	ds_write_b128 v56, v[4:7] offset:20672
	;; [unrolled: 1-line block ×5, first 2 shown]
.LBB0_24:
	s_or_b64 exec, exec, s[18:19]
	v_mul_u32_u24_e32 v0, 15, v124
	v_lshlrev_b32_e32 v60, 4, v0
	s_waitcnt lgkmcnt(0)
	s_barrier
	global_load_dwordx4 v[0:3], v60, s[8:9] offset:1088
	global_load_dwordx4 v[4:7], v60, s[8:9] offset:1104
	;; [unrolled: 1-line block ×15, first 2 shown]
	ds_read_b128 v[60:63], v251
	ds_read_b128 v[64:67], v125 offset:1360
	ds_read_b128 v[68:71], v125 offset:2720
	;; [unrolled: 1-line block ×15, first 2 shown]
	s_mov_b32 s4, 0x667f3bcd
	s_mov_b32 s5, 0xbfe6a09e
	;; [unrolled: 1-line block ×12, first 2 shown]
	s_waitcnt lgkmcnt(0)
	s_barrier
	s_waitcnt vmcnt(14)
	v_mul_f64 v[130:131], v[66:67], v[2:3]
	v_mul_f64 v[2:3], v[64:65], v[2:3]
	s_waitcnt vmcnt(13)
	v_mul_f64 v[132:133], v[70:71], v[6:7]
	v_mul_f64 v[6:7], v[68:69], v[6:7]
	;; [unrolled: 3-line block ×8, first 2 shown]
	v_mul_f64 v[140:141], v[86:87], v[22:23]
	s_waitcnt vmcnt(5)
	v_mul_f64 v[148:149], v[102:103], v[38:39]
	v_mul_f64 v[38:39], v[100:101], v[38:39]
	s_waitcnt vmcnt(4)
	v_mul_f64 v[150:151], v[106:107], v[42:43]
	s_waitcnt vmcnt(3)
	v_mul_f64 v[152:153], v[110:111], v[46:47]
	v_fmac_f64_e32 v[130:131], v[64:65], v[0:1]
	v_fma_f64 v[0:1], v[66:67], v[0:1], -v[2:3]
	v_fmac_f64_e32 v[132:133], v[68:69], v[4:5]
	v_fma_f64 v[2:3], v[70:71], v[4:5], -v[6:7]
	;; [unrolled: 2-line block ×8, first 2 shown]
	s_waitcnt vmcnt(2)
	v_mul_f64 v[24:25], v[114:115], v[50:51]
	s_waitcnt vmcnt(1)
	v_mul_f64 v[28:29], v[118:119], v[54:55]
	;; [unrolled: 2-line block ×3, first 2 shown]
	v_mul_f64 v[22:23], v[84:85], v[22:23]
	v_mul_f64 v[42:43], v[104:105], v[42:43]
	;; [unrolled: 1-line block ×3, first 2 shown]
	v_fmac_f64_e32 v[140:141], v[84:85], v[20:21]
	v_fma_f64 v[18:19], v[102:103], v[36:37], -v[38:39]
	v_fmac_f64_e32 v[150:151], v[104:105], v[40:41]
	v_fmac_f64_e32 v[152:153], v[108:109], v[44:45]
	;; [unrolled: 1-line block ×4, first 2 shown]
	v_mul_f64 v[30:31], v[116:117], v[54:55]
	v_fmac_f64_e32 v[32:33], v[126:127], v[56:57]
	v_fma_f64 v[10:11], v[86:87], v[20:21], -v[22:23]
	v_fmac_f64_e32 v[148:149], v[100:101], v[36:37]
	v_fma_f64 v[20:21], v[106:107], v[40:41], -v[42:43]
	v_fma_f64 v[22:23], v[110:111], v[44:45], -v[46:47]
	v_mul_f64 v[26:27], v[112:113], v[50:51]
	v_fma_f64 v[30:31], v[118:119], v[52:53], -v[30:31]
	v_mul_f64 v[34:35], v[126:127], v[58:59]
	v_add_f64 v[36:37], v[60:61], -v[144:145]
	v_add_f64 v[14:15], v[62:63], -v[14:15]
	;; [unrolled: 1-line block ×9, first 2 shown]
	v_fma_f64 v[26:27], v[114:115], v[48:49], -v[26:27]
	v_fma_f64 v[34:35], v[128:129], v[56:57], -v[34:35]
	v_fma_f64 v[38:39], v[60:61], 2.0, -v[36:37]
	v_fma_f64 v[40:41], v[62:63], 2.0, -v[14:15]
	v_add_f64 v[22:23], v[6:7], -v[22:23]
	v_fma_f64 v[44:45], v[136:137], 2.0, -v[42:43]
	v_add_f64 v[46:47], v[132:133], -v[148:149]
	v_add_f64 v[30:31], v[10:11], -v[30:31]
	v_fma_f64 v[50:51], v[140:141], 2.0, -v[28:29]
	v_fma_f64 v[54:55], v[130:131], 2.0, -v[52:53]
	;; [unrolled: 1-line block ×5, first 2 shown]
	v_add_f64 v[42:43], v[14:15], -v[42:43]
	v_add_f64 v[28:29], v[18:19], -v[28:29]
	v_fma_f64 v[6:7], v[6:7], 2.0, -v[22:23]
	v_fma_f64 v[2:3], v[2:3], 2.0, -v[18:19]
	;; [unrolled: 1-line block ×3, first 2 shown]
	v_add_f64 v[16:17], v[0:1], -v[16:17]
	v_add_f64 v[26:27], v[8:9], -v[26:27]
	;; [unrolled: 1-line block ×4, first 2 shown]
	v_add_f64 v[30:31], v[46:47], v[30:31]
	v_add_f64 v[56:57], v[54:55], -v[56:57]
	v_add_f64 v[62:63], v[60:61], -v[62:63]
	v_fma_f64 v[76:77], s[8:9], v[28:29], v[42:43]
	v_fma_f64 v[48:49], v[132:133], 2.0, -v[46:47]
	v_fma_f64 v[8:9], v[8:9], 2.0, -v[26:27]
	v_fma_f64 v[12:13], v[12:13], 2.0, -v[34:35]
	v_add_f64 v[6:7], v[40:41], -v[6:7]
	v_add_f64 v[22:23], v[36:37], v[22:23]
	v_add_f64 v[10:11], v[2:3], -v[10:11]
	v_fma_f64 v[54:55], v[54:55], 2.0, -v[56:57]
	v_add_f64 v[26:27], v[52:53], v[26:27]
	v_add_f64 v[24:25], v[16:17], -v[24:25]
	v_fma_f64 v[60:61], v[60:61], 2.0, -v[62:63]
	v_add_f64 v[34:35], v[58:59], v[34:35]
	v_add_f64 v[32:33], v[20:21], -v[32:33]
	v_fmac_f64_e32 v[76:77], s[4:5], v[30:31]
	v_fma_f64 v[0:1], v[0:1], 2.0, -v[16:17]
	v_fma_f64 v[4:5], v[4:5], 2.0, -v[20:21]
	;; [unrolled: 1-line block ×5, first 2 shown]
	v_add_f64 v[50:51], v[48:49], -v[50:51]
	v_fma_f64 v[2:3], v[2:3], 2.0, -v[10:11]
	v_fma_f64 v[46:47], v[46:47], 2.0, -v[30:31]
	;; [unrolled: 1-line block ×6, first 2 shown]
	v_fma_f64 v[74:75], s[8:9], v[30:31], v[22:23]
	v_fma_f64 v[30:31], v[42:43], 2.0, -v[76:77]
	v_add_f64 v[42:43], v[54:55], -v[60:61]
	v_fma_f64 v[48:49], v[48:49], 2.0, -v[50:51]
	v_fma_f64 v[18:19], v[18:19], 2.0, -v[28:29]
	v_add_f64 v[8:9], v[0:1], -v[8:9]
	v_add_f64 v[64:65], v[40:41], -v[2:3]
	v_fma_f64 v[66:67], s[4:5], v[46:47], v[36:37]
	v_add_f64 v[72:73], v[6:7], -v[50:51]
	v_fma_f64 v[2:3], v[54:55], 2.0, -v[42:43]
	v_fma_f64 v[50:51], s[4:5], v[58:59], v[52:53]
	v_fma_f64 v[54:55], s[4:5], v[20:21], v[16:17]
	v_add_f64 v[44:45], v[38:39], -v[44:45]
	v_add_f64 v[12:13], v[4:5], -v[12:13]
	v_fma_f64 v[68:69], s[4:5], v[18:19], v[14:15]
	v_fmac_f64_e32 v[66:67], s[8:9], v[18:19]
	v_fmac_f64_e32 v[50:51], s[8:9], v[20:21]
	;; [unrolled: 1-line block ×3, first 2 shown]
	v_add_f64 v[58:59], v[8:9], -v[62:63]
	v_fma_f64 v[62:63], s[8:9], v[32:33], v[24:25]
	v_fmac_f64_e32 v[68:69], s[4:5], v[46:47]
	v_fma_f64 v[18:19], v[36:37], 2.0, -v[66:67]
	v_add_f64 v[70:71], v[44:45], v[10:11]
	v_fmac_f64_e32 v[74:75], s[8:9], v[28:29]
	v_fma_f64 v[20:21], v[52:53], 2.0, -v[50:51]
	v_add_f64 v[52:53], v[56:57], v[12:13]
	v_fma_f64 v[60:61], s[8:9], v[34:35], v[26:27]
	v_fmac_f64_e32 v[62:63], s[4:5], v[34:35]
	v_fma_f64 v[38:39], v[38:39], 2.0, -v[44:45]
	v_fma_f64 v[0:1], v[0:1], 2.0, -v[8:9]
	;; [unrolled: 1-line block ×9, first 2 shown]
	v_fmac_f64_e32 v[60:61], s[8:9], v[32:33]
	v_fma_f64 v[34:35], v[24:25], 2.0, -v[62:63]
	v_fma_f64 v[8:9], s[12:13], v[20:21], v[18:19]
	v_add_f64 v[48:49], v[38:39], -v[48:49]
	v_add_f64 v[46:47], v[0:1], -v[4:5]
	v_fma_f64 v[32:33], v[26:27], 2.0, -v[60:61]
	v_fma_f64 v[10:11], s[12:13], v[16:17], v[14:15]
	v_fmac_f64_e32 v[8:9], s[10:11], v[16:17]
	v_fma_f64 v[16:17], s[4:5], v[22:23], v[36:37]
	v_fma_f64 v[26:27], s[14:15], v[34:35], v[30:31]
	v_fma_f64 v[38:39], v[38:39], 2.0, -v[48:49]
	v_fma_f64 v[40:41], v[40:41], 2.0, -v[64:65]
	;; [unrolled: 1-line block ×3, first 2 shown]
	v_fmac_f64_e32 v[16:17], s[8:9], v[56:57]
	v_fma_f64 v[24:25], s[14:15], v[32:33], v[28:29]
	v_fmac_f64_e32 v[26:27], s[12:13], v[32:33]
	v_add_f64 v[32:33], v[48:49], v[46:47]
	v_fma_f64 v[44:45], v[6:7], 2.0, -v[72:73]
	v_add_f64 v[0:1], v[38:39], -v[2:3]
	v_add_f64 v[2:3], v[40:41], -v[4:5]
	v_fmac_f64_e32 v[10:11], s[14:15], v[20:21]
	v_fma_f64 v[20:21], v[36:37], 2.0, -v[16:17]
	v_fmac_f64_e32 v[24:25], s[16:17], v[34:35]
	v_add_f64 v[34:35], v[64:65], -v[42:43]
	v_fma_f64 v[36:37], v[48:49], 2.0, -v[32:33]
	v_fma_f64 v[42:43], s[10:11], v[54:55], v[68:69]
	v_fma_f64 v[48:49], s[8:9], v[52:53], v[70:71]
	v_fma_f64 v[6:7], v[40:41], 2.0, -v[2:3]
	v_fma_f64 v[12:13], v[18:19], 2.0, -v[8:9]
	v_fma_f64 v[18:19], s[4:5], v[56:57], v[44:45]
	v_fma_f64 v[40:41], s[10:11], v[50:51], v[66:67]
	v_fmac_f64_e32 v[42:43], s[12:13], v[50:51]
	v_fma_f64 v[50:51], s[8:9], v[58:59], v[72:73]
	v_fmac_f64_e32 v[48:49], s[8:9], v[58:59]
	v_fma_f64 v[56:57], s[16:17], v[60:61], v[74:75]
	v_fma_f64 v[58:59], s[16:17], v[62:63], v[76:77]
	v_fma_f64 v[4:5], v[38:39], 2.0, -v[0:1]
	v_fmac_f64_e32 v[18:19], s[4:5], v[22:23]
	v_fmac_f64_e32 v[40:41], s[16:17], v[54:55]
	;; [unrolled: 1-line block ×5, first 2 shown]
	v_fma_f64 v[14:15], v[14:15], 2.0, -v[10:11]
	v_fma_f64 v[22:23], v[44:45], 2.0, -v[18:19]
	;; [unrolled: 1-line block ×11, first 2 shown]
	ds_write_b128 v125, v[4:7]
	ds_write_b128 v125, v[12:15] offset:1360
	ds_write_b128 v125, v[20:23] offset:2720
	;; [unrolled: 1-line block ×15, first 2 shown]
	s_waitcnt lgkmcnt(0)
	s_barrier
	s_and_saveexec_b64 s[4:5], s[0:1]
	s_cbranch_execz .LBB0_26
; %bb.25:
	v_mul_lo_u32 v0, s3, v122
	v_mul_lo_u32 v1, s2, v123
	v_mad_u64_u32 v[4:5], s[0:1], s2, v122, 0
	v_lshl_add_u32 v12, v124, 4, v252
	v_add3_u32 v5, v5, v1, v0
	ds_read_b128 v[0:3], v12
	v_lshl_add_u64 v[4:5], v[4:5], 4, s[6:7]
	v_lshl_add_u64 v[8:9], v[120:121], 4, v[4:5]
	ds_read_b128 v[4:7], v12 offset:1360
	v_mov_b32_e32 v125, 0
	v_lshl_add_u64 v[10:11], v[124:125], 4, v[8:9]
	s_waitcnt lgkmcnt(1)
	global_store_dwordx4 v[10:11], v[0:3], off
	s_nop 1
	v_add_u32_e32 v0, 0x55, v124
	v_mov_b32_e32 v1, v125
	v_lshl_add_u64 v[0:1], v[0:1], 4, v[8:9]
	s_waitcnt lgkmcnt(0)
	global_store_dwordx4 v[0:1], v[4:7], off
	ds_read_b128 v[0:3], v12 offset:2720
	s_nop 0
	v_add_u32_e32 v4, 0xaa, v124
	v_mov_b32_e32 v5, v125
	v_lshl_add_u64 v[10:11], v[4:5], 4, v[8:9]
	ds_read_b128 v[4:7], v12 offset:4080
	s_waitcnt lgkmcnt(1)
	global_store_dwordx4 v[10:11], v[0:3], off
	s_nop 1
	v_add_u32_e32 v0, 0xff, v124
	v_mov_b32_e32 v1, v125
	v_lshl_add_u64 v[0:1], v[0:1], 4, v[8:9]
	s_waitcnt lgkmcnt(0)
	global_store_dwordx4 v[0:1], v[4:7], off
	ds_read_b128 v[0:3], v12 offset:5440
	s_nop 0
	v_add_u32_e32 v4, 0x154, v124
	v_mov_b32_e32 v5, v125
	v_lshl_add_u64 v[10:11], v[4:5], 4, v[8:9]
	ds_read_b128 v[4:7], v12 offset:6800
	;; [unrolled: 14-line block ×6, first 2 shown]
	s_waitcnt lgkmcnt(1)
	global_store_dwordx4 v[10:11], v[0:3], off
	v_add_u32_e32 v10, 0x4a6, v124
	v_mov_b32_e32 v11, v125
	v_add_u32_e32 v0, 0x451, v124
	v_mov_b32_e32 v1, v125
	v_lshl_add_u64 v[0:1], v[0:1], 4, v[8:9]
	s_waitcnt lgkmcnt(0)
	global_store_dwordx4 v[0:1], v[4:7], off
	ds_read_b128 v[0:3], v12 offset:19040
	ds_read_b128 v[4:7], v12 offset:20400
	v_lshl_add_u64 v[10:11], v[10:11], 4, v[8:9]
	v_add_u32_e32 v124, 0x4fb, v124
	s_waitcnt lgkmcnt(1)
	global_store_dwordx4 v[10:11], v[0:3], off
	s_nop 1
	v_lshl_add_u64 v[0:1], v[124:125], 4, v[8:9]
	s_waitcnt lgkmcnt(0)
	global_store_dwordx4 v[0:1], v[4:7], off
.LBB0_26:
	s_endpgm
	.section	.rodata,"a",@progbits
	.p2align	6, 0x0
	.amdhsa_kernel fft_rtc_back_len1360_factors_17_5_16_wgs_255_tpt_85_halfLds_dp_op_CI_CI_unitstride_sbrr_C2R_dirReg
		.amdhsa_group_segment_fixed_size 0
		.amdhsa_private_segment_fixed_size 0
		.amdhsa_kernarg_size 104
		.amdhsa_user_sgpr_count 2
		.amdhsa_user_sgpr_dispatch_ptr 0
		.amdhsa_user_sgpr_queue_ptr 0
		.amdhsa_user_sgpr_kernarg_segment_ptr 1
		.amdhsa_user_sgpr_dispatch_id 0
		.amdhsa_user_sgpr_kernarg_preload_length 0
		.amdhsa_user_sgpr_kernarg_preload_offset 0
		.amdhsa_user_sgpr_private_segment_size 0
		.amdhsa_uses_dynamic_stack 0
		.amdhsa_enable_private_segment 0
		.amdhsa_system_sgpr_workgroup_id_x 1
		.amdhsa_system_sgpr_workgroup_id_y 0
		.amdhsa_system_sgpr_workgroup_id_z 0
		.amdhsa_system_sgpr_workgroup_info 0
		.amdhsa_system_vgpr_workitem_id 0
		.amdhsa_next_free_vgpr 284
		.amdhsa_next_free_sgpr 58
		.amdhsa_accum_offset 256
		.amdhsa_reserve_vcc 1
		.amdhsa_float_round_mode_32 0
		.amdhsa_float_round_mode_16_64 0
		.amdhsa_float_denorm_mode_32 3
		.amdhsa_float_denorm_mode_16_64 3
		.amdhsa_dx10_clamp 1
		.amdhsa_ieee_mode 1
		.amdhsa_fp16_overflow 0
		.amdhsa_tg_split 0
		.amdhsa_exception_fp_ieee_invalid_op 0
		.amdhsa_exception_fp_denorm_src 0
		.amdhsa_exception_fp_ieee_div_zero 0
		.amdhsa_exception_fp_ieee_overflow 0
		.amdhsa_exception_fp_ieee_underflow 0
		.amdhsa_exception_fp_ieee_inexact 0
		.amdhsa_exception_int_div_zero 0
	.end_amdhsa_kernel
	.text
.Lfunc_end0:
	.size	fft_rtc_back_len1360_factors_17_5_16_wgs_255_tpt_85_halfLds_dp_op_CI_CI_unitstride_sbrr_C2R_dirReg, .Lfunc_end0-fft_rtc_back_len1360_factors_17_5_16_wgs_255_tpt_85_halfLds_dp_op_CI_CI_unitstride_sbrr_C2R_dirReg
                                        ; -- End function
	.section	.AMDGPU.csdata,"",@progbits
; Kernel info:
; codeLenInByte = 15456
; NumSgprs: 64
; NumVgprs: 256
; NumAgprs: 28
; TotalNumVgprs: 284
; ScratchSize: 0
; MemoryBound: 0
; FloatMode: 240
; IeeeMode: 1
; LDSByteSize: 0 bytes/workgroup (compile time only)
; SGPRBlocks: 7
; VGPRBlocks: 35
; NumSGPRsForWavesPerEU: 64
; NumVGPRsForWavesPerEU: 284
; AccumOffset: 256
; Occupancy: 1
; WaveLimiterHint : 1
; COMPUTE_PGM_RSRC2:SCRATCH_EN: 0
; COMPUTE_PGM_RSRC2:USER_SGPR: 2
; COMPUTE_PGM_RSRC2:TRAP_HANDLER: 0
; COMPUTE_PGM_RSRC2:TGID_X_EN: 1
; COMPUTE_PGM_RSRC2:TGID_Y_EN: 0
; COMPUTE_PGM_RSRC2:TGID_Z_EN: 0
; COMPUTE_PGM_RSRC2:TIDIG_COMP_CNT: 0
; COMPUTE_PGM_RSRC3_GFX90A:ACCUM_OFFSET: 63
; COMPUTE_PGM_RSRC3_GFX90A:TG_SPLIT: 0
	.text
	.p2alignl 6, 3212836864
	.fill 256, 4, 3212836864
	.type	__hip_cuid_8e4bb1f5af51daf5,@object ; @__hip_cuid_8e4bb1f5af51daf5
	.section	.bss,"aw",@nobits
	.globl	__hip_cuid_8e4bb1f5af51daf5
__hip_cuid_8e4bb1f5af51daf5:
	.byte	0                               ; 0x0
	.size	__hip_cuid_8e4bb1f5af51daf5, 1

	.ident	"AMD clang version 19.0.0git (https://github.com/RadeonOpenCompute/llvm-project roc-6.4.0 25133 c7fe45cf4b819c5991fe208aaa96edf142730f1d)"
	.section	".note.GNU-stack","",@progbits
	.addrsig
	.addrsig_sym __hip_cuid_8e4bb1f5af51daf5
	.amdgpu_metadata
---
amdhsa.kernels:
  - .agpr_count:     28
    .args:
      - .actual_access:  read_only
        .address_space:  global
        .offset:         0
        .size:           8
        .value_kind:     global_buffer
      - .offset:         8
        .size:           8
        .value_kind:     by_value
      - .actual_access:  read_only
        .address_space:  global
        .offset:         16
        .size:           8
        .value_kind:     global_buffer
      - .actual_access:  read_only
        .address_space:  global
        .offset:         24
        .size:           8
        .value_kind:     global_buffer
      - .actual_access:  read_only
        .address_space:  global
        .offset:         32
        .size:           8
        .value_kind:     global_buffer
      - .offset:         40
        .size:           8
        .value_kind:     by_value
      - .actual_access:  read_only
        .address_space:  global
        .offset:         48
        .size:           8
        .value_kind:     global_buffer
      - .actual_access:  read_only
        .address_space:  global
        .offset:         56
        .size:           8
        .value_kind:     global_buffer
      - .offset:         64
        .size:           4
        .value_kind:     by_value
      - .actual_access:  read_only
        .address_space:  global
        .offset:         72
        .size:           8
        .value_kind:     global_buffer
      - .actual_access:  read_only
        .address_space:  global
        .offset:         80
        .size:           8
        .value_kind:     global_buffer
      - .actual_access:  read_only
        .address_space:  global
        .offset:         88
        .size:           8
        .value_kind:     global_buffer
      - .actual_access:  write_only
        .address_space:  global
        .offset:         96
        .size:           8
        .value_kind:     global_buffer
    .group_segment_fixed_size: 0
    .kernarg_segment_align: 8
    .kernarg_segment_size: 104
    .language:       OpenCL C
    .language_version:
      - 2
      - 0
    .max_flat_workgroup_size: 255
    .name:           fft_rtc_back_len1360_factors_17_5_16_wgs_255_tpt_85_halfLds_dp_op_CI_CI_unitstride_sbrr_C2R_dirReg
    .private_segment_fixed_size: 0
    .sgpr_count:     64
    .sgpr_spill_count: 0
    .symbol:         fft_rtc_back_len1360_factors_17_5_16_wgs_255_tpt_85_halfLds_dp_op_CI_CI_unitstride_sbrr_C2R_dirReg.kd
    .uniform_work_group_size: 1
    .uses_dynamic_stack: false
    .vgpr_count:     284
    .vgpr_spill_count: 0
    .wavefront_size: 64
amdhsa.target:   amdgcn-amd-amdhsa--gfx950
amdhsa.version:
  - 1
  - 2
...

	.end_amdgpu_metadata
